;; amdgpu-corpus repo=ROCm/rocFFT kind=compiled arch=gfx950 opt=O3
	.text
	.amdgcn_target "amdgcn-amd-amdhsa--gfx950"
	.amdhsa_code_object_version 6
	.protected	fft_rtc_fwd_len2000_factors_5_5_5_16_wgs_125_tpt_125_halfLds_sp_ip_CI_unitstride_sbrr_C2R_dirReg ; -- Begin function fft_rtc_fwd_len2000_factors_5_5_5_16_wgs_125_tpt_125_halfLds_sp_ip_CI_unitstride_sbrr_C2R_dirReg
	.globl	fft_rtc_fwd_len2000_factors_5_5_5_16_wgs_125_tpt_125_halfLds_sp_ip_CI_unitstride_sbrr_C2R_dirReg
	.p2align	8
	.type	fft_rtc_fwd_len2000_factors_5_5_5_16_wgs_125_tpt_125_halfLds_sp_ip_CI_unitstride_sbrr_C2R_dirReg,@function
fft_rtc_fwd_len2000_factors_5_5_5_16_wgs_125_tpt_125_halfLds_sp_ip_CI_unitstride_sbrr_C2R_dirReg: ; @fft_rtc_fwd_len2000_factors_5_5_5_16_wgs_125_tpt_125_halfLds_sp_ip_CI_unitstride_sbrr_C2R_dirReg
; %bb.0:
	s_load_dwordx2 s[8:9], s[0:1], 0x50
	s_load_dwordx4 s[4:7], s[0:1], 0x0
	s_load_dwordx2 s[10:11], s[0:1], 0x18
	v_mul_u32_u24_e32 v1, 0x20d, v0
	v_add_u32_sdwa v6, s2, v1 dst_sel:DWORD dst_unused:UNUSED_PAD src0_sel:DWORD src1_sel:WORD_1
	v_mov_b32_e32 v4, 0
	s_waitcnt lgkmcnt(0)
	v_cmp_lt_u64_e64 s[2:3], s[6:7], 2
	v_mov_b32_e32 v7, v4
	s_and_b64 vcc, exec, s[2:3]
	v_mov_b64_e32 v[2:3], 0
	s_cbranch_vccnz .LBB0_8
; %bb.1:
	s_load_dwordx2 s[2:3], s[0:1], 0x10
	s_add_u32 s12, s10, 8
	s_addc_u32 s13, s11, 0
	s_mov_b64 s[14:15], 1
	v_mov_b64_e32 v[2:3], 0
	s_waitcnt lgkmcnt(0)
	s_add_u32 s16, s2, 8
	s_addc_u32 s17, s3, 0
.LBB0_2:                                ; =>This Inner Loop Header: Depth=1
	s_load_dwordx2 s[18:19], s[16:17], 0x0
                                        ; implicit-def: $vgpr8_vgpr9
	s_waitcnt lgkmcnt(0)
	v_or_b32_e32 v5, s19, v7
	v_cmp_ne_u64_e32 vcc, 0, v[4:5]
	s_and_saveexec_b64 s[2:3], vcc
	s_xor_b64 s[20:21], exec, s[2:3]
	s_cbranch_execz .LBB0_4
; %bb.3:                                ;   in Loop: Header=BB0_2 Depth=1
	v_cvt_f32_u32_e32 v1, s18
	v_cvt_f32_u32_e32 v5, s19
	s_sub_u32 s2, 0, s18
	s_subb_u32 s3, 0, s19
	v_fmac_f32_e32 v1, 0x4f800000, v5
	v_rcp_f32_e32 v1, v1
	s_nop 0
	v_mul_f32_e32 v1, 0x5f7ffffc, v1
	v_mul_f32_e32 v5, 0x2f800000, v1
	v_trunc_f32_e32 v5, v5
	v_fmac_f32_e32 v1, 0xcf800000, v5
	v_cvt_u32_f32_e32 v5, v5
	v_cvt_u32_f32_e32 v1, v1
	v_mul_lo_u32 v8, s2, v5
	v_mul_hi_u32 v10, s2, v1
	v_mul_lo_u32 v9, s3, v1
	v_add_u32_e32 v10, v10, v8
	v_mul_lo_u32 v12, s2, v1
	v_add_u32_e32 v13, v10, v9
	v_mul_hi_u32 v8, v1, v12
	v_mul_hi_u32 v11, v1, v13
	v_mul_lo_u32 v10, v1, v13
	v_mov_b32_e32 v9, v4
	v_lshl_add_u64 v[8:9], v[8:9], 0, v[10:11]
	v_mul_hi_u32 v11, v5, v12
	v_mul_lo_u32 v12, v5, v12
	v_add_co_u32_e32 v8, vcc, v8, v12
	v_mul_hi_u32 v10, v5, v13
	s_nop 0
	v_addc_co_u32_e32 v8, vcc, v9, v11, vcc
	v_mov_b32_e32 v9, v4
	s_nop 0
	v_addc_co_u32_e32 v11, vcc, 0, v10, vcc
	v_mul_lo_u32 v10, v5, v13
	v_lshl_add_u64 v[8:9], v[8:9], 0, v[10:11]
	v_add_co_u32_e32 v1, vcc, v1, v8
	v_mul_lo_u32 v10, s2, v1
	s_nop 0
	v_addc_co_u32_e32 v5, vcc, v5, v9, vcc
	v_mul_lo_u32 v8, s2, v5
	v_mul_hi_u32 v9, s2, v1
	v_add_u32_e32 v8, v9, v8
	v_mul_lo_u32 v9, s3, v1
	v_add_u32_e32 v12, v8, v9
	v_mul_hi_u32 v14, v5, v10
	v_mul_lo_u32 v15, v5, v10
	v_mul_hi_u32 v9, v1, v12
	v_mul_lo_u32 v8, v1, v12
	v_mul_hi_u32 v10, v1, v10
	v_mov_b32_e32 v11, v4
	v_lshl_add_u64 v[8:9], v[10:11], 0, v[8:9]
	v_add_co_u32_e32 v8, vcc, v8, v15
	v_mul_hi_u32 v13, v5, v12
	s_nop 0
	v_addc_co_u32_e32 v8, vcc, v9, v14, vcc
	v_mul_lo_u32 v10, v5, v12
	s_nop 0
	v_addc_co_u32_e32 v11, vcc, 0, v13, vcc
	v_mov_b32_e32 v9, v4
	v_lshl_add_u64 v[8:9], v[8:9], 0, v[10:11]
	v_add_co_u32_e32 v1, vcc, v1, v8
	v_mul_hi_u32 v10, v6, v1
	s_nop 0
	v_addc_co_u32_e32 v5, vcc, v5, v9, vcc
	v_mad_u64_u32 v[8:9], s[2:3], v6, v5, 0
	v_mov_b32_e32 v11, v4
	v_lshl_add_u64 v[8:9], v[10:11], 0, v[8:9]
	v_mad_u64_u32 v[12:13], s[2:3], v7, v1, 0
	v_add_co_u32_e32 v1, vcc, v8, v12
	v_mad_u64_u32 v[10:11], s[2:3], v7, v5, 0
	s_nop 0
	v_addc_co_u32_e32 v8, vcc, v9, v13, vcc
	v_mov_b32_e32 v9, v4
	s_nop 0
	v_addc_co_u32_e32 v11, vcc, 0, v11, vcc
	v_lshl_add_u64 v[8:9], v[8:9], 0, v[10:11]
	v_mul_lo_u32 v1, s19, v8
	v_mul_lo_u32 v5, s18, v9
	v_mad_u64_u32 v[10:11], s[2:3], s18, v8, 0
	v_add3_u32 v1, v11, v5, v1
	v_sub_u32_e32 v5, v7, v1
	v_mov_b32_e32 v11, s19
	v_sub_co_u32_e32 v14, vcc, v6, v10
	v_lshl_add_u64 v[12:13], v[8:9], 0, 1
	s_nop 0
	v_subb_co_u32_e64 v5, s[2:3], v5, v11, vcc
	v_subrev_co_u32_e64 v10, s[2:3], s18, v14
	v_subb_co_u32_e32 v1, vcc, v7, v1, vcc
	s_nop 0
	v_subbrev_co_u32_e64 v5, s[2:3], 0, v5, s[2:3]
	v_cmp_le_u32_e64 s[2:3], s19, v5
	v_cmp_le_u32_e32 vcc, s19, v1
	s_nop 0
	v_cndmask_b32_e64 v11, 0, -1, s[2:3]
	v_cmp_le_u32_e64 s[2:3], s18, v10
	s_nop 1
	v_cndmask_b32_e64 v10, 0, -1, s[2:3]
	v_cmp_eq_u32_e64 s[2:3], s19, v5
	s_nop 1
	v_cndmask_b32_e64 v5, v11, v10, s[2:3]
	v_lshl_add_u64 v[10:11], v[8:9], 0, 2
	v_cmp_ne_u32_e64 s[2:3], 0, v5
	s_nop 1
	v_cndmask_b32_e64 v5, v13, v11, s[2:3]
	v_cndmask_b32_e64 v11, 0, -1, vcc
	v_cmp_le_u32_e32 vcc, s18, v14
	s_nop 1
	v_cndmask_b32_e64 v13, 0, -1, vcc
	v_cmp_eq_u32_e32 vcc, s19, v1
	s_nop 1
	v_cndmask_b32_e32 v1, v11, v13, vcc
	v_cmp_ne_u32_e32 vcc, 0, v1
	v_cndmask_b32_e64 v1, v12, v10, s[2:3]
	s_nop 0
	v_cndmask_b32_e32 v9, v9, v5, vcc
	v_cndmask_b32_e32 v8, v8, v1, vcc
.LBB0_4:                                ;   in Loop: Header=BB0_2 Depth=1
	s_andn2_saveexec_b64 s[2:3], s[20:21]
	s_cbranch_execz .LBB0_6
; %bb.5:                                ;   in Loop: Header=BB0_2 Depth=1
	v_cvt_f32_u32_e32 v1, s18
	s_sub_i32 s20, 0, s18
	v_rcp_iflag_f32_e32 v1, v1
	s_nop 0
	v_mul_f32_e32 v1, 0x4f7ffffe, v1
	v_cvt_u32_f32_e32 v1, v1
	v_mul_lo_u32 v5, s20, v1
	v_mul_hi_u32 v5, v1, v5
	v_add_u32_e32 v1, v1, v5
	v_mul_hi_u32 v1, v6, v1
	v_mul_lo_u32 v5, v1, s18
	v_sub_u32_e32 v5, v6, v5
	v_add_u32_e32 v8, 1, v1
	v_subrev_u32_e32 v9, s18, v5
	v_cmp_le_u32_e32 vcc, s18, v5
	s_nop 1
	v_cndmask_b32_e32 v5, v5, v9, vcc
	v_cndmask_b32_e32 v1, v1, v8, vcc
	v_add_u32_e32 v8, 1, v1
	v_cmp_le_u32_e32 vcc, s18, v5
	v_mov_b32_e32 v9, v4
	s_nop 0
	v_cndmask_b32_e32 v8, v1, v8, vcc
.LBB0_6:                                ;   in Loop: Header=BB0_2 Depth=1
	s_or_b64 exec, exec, s[2:3]
	v_mad_u64_u32 v[10:11], s[2:3], v8, s18, 0
	s_load_dwordx2 s[2:3], s[12:13], 0x0
	v_mul_lo_u32 v1, v9, s18
	v_mul_lo_u32 v5, v8, s19
	v_add3_u32 v1, v11, v5, v1
	v_sub_co_u32_e32 v5, vcc, v6, v10
	s_add_u32 s14, s14, 1
	s_nop 0
	v_subb_co_u32_e32 v1, vcc, v7, v1, vcc
	s_addc_u32 s15, s15, 0
	s_waitcnt lgkmcnt(0)
	v_mul_lo_u32 v1, s2, v1
	v_mul_lo_u32 v6, s3, v5
	v_mad_u64_u32 v[2:3], s[2:3], s2, v5, v[2:3]
	s_add_u32 s12, s12, 8
	v_add3_u32 v3, v6, v3, v1
	s_addc_u32 s13, s13, 0
	v_mov_b64_e32 v[6:7], s[6:7]
	s_add_u32 s16, s16, 8
	v_cmp_ge_u64_e32 vcc, s[14:15], v[6:7]
	s_addc_u32 s17, s17, 0
	s_cbranch_vccnz .LBB0_9
; %bb.7:                                ;   in Loop: Header=BB0_2 Depth=1
	v_mov_b64_e32 v[6:7], v[8:9]
	s_branch .LBB0_2
.LBB0_8:
	v_mov_b64_e32 v[8:9], v[6:7]
.LBB0_9:
	s_lshl_b64 s[2:3], s[6:7], 3
	s_add_u32 s2, s10, s2
	s_addc_u32 s3, s11, s3
	s_load_dwordx2 s[6:7], s[2:3], 0x0
	s_load_dwordx2 s[10:11], s[0:1], 0x20
	s_mov_b32 s2, 0x20c49bb
	s_waitcnt lgkmcnt(0)
	v_mul_lo_u32 v1, s6, v9
	v_mul_lo_u32 v4, s7, v8
	v_mad_u64_u32 v[2:3], s[0:1], s6, v8, v[2:3]
	v_add3_u32 v3, v4, v3, v1
	v_mul_hi_u32 v1, v0, s2
	v_mul_u32_u24_e32 v1, 0x7d, v1
	v_cmp_gt_u64_e64 s[0:1], s[10:11], v[8:9]
	v_sub_u32_e32 v28, v0, v1
	v_lshl_add_u64 v[30:31], v[2:3], 3, s[8:9]
	s_and_saveexec_b64 s[2:3], s[0:1]
	s_cbranch_execz .LBB0_13
; %bb.10:
	v_mov_b32_e32 v29, 0
	v_lshl_add_u64 v[0:1], v[28:29], 3, v[30:31]
	v_add_co_u32_e32 v10, vcc, 0x1000, v0
	global_load_dwordx2 v[2:3], v[0:1], off
	global_load_dwordx2 v[4:5], v[0:1], off offset:1000
	global_load_dwordx2 v[6:7], v[0:1], off offset:2000
	;; [unrolled: 1-line block ×3, first 2 shown]
	v_addc_co_u32_e32 v11, vcc, 0, v1, vcc
	v_add_co_u32_e32 v20, vcc, 0x2000, v0
	global_load_dwordx2 v[12:13], v[0:1], off offset:4000
	global_load_dwordx2 v[14:15], v[10:11], off offset:904
	;; [unrolled: 1-line block ×4, first 2 shown]
	v_addc_co_u32_e32 v21, vcc, 0, v1, vcc
	v_add_co_u32_e32 v0, vcc, 0x3000, v0
	global_load_dwordx2 v[22:23], v[10:11], off offset:3904
	global_load_dwordx2 v[24:25], v[20:21], off offset:808
	;; [unrolled: 1-line block ×4, first 2 shown]
	v_addc_co_u32_e32 v1, vcc, 0, v1, vcc
	global_load_dwordx2 v[10:11], v[20:21], off offset:3808
	global_load_dwordx2 v[34:35], v[0:1], off offset:712
	;; [unrolled: 1-line block ×4, first 2 shown]
	s_movk_i32 s6, 0x7c
	v_lshl_add_u32 v0, v28, 3, 0
	v_cmp_eq_u32_e32 vcc, s6, v28
	v_add_u32_e32 v1, 0x400, v0
	v_add_u32_e32 v20, 0xc00, v0
	;; [unrolled: 1-line block ×7, first 2 shown]
	s_waitcnt vmcnt(14)
	ds_write2_b64 v0, v[2:3], v[4:5] offset1:125
	s_waitcnt vmcnt(12)
	ds_write2_b64 v1, v[6:7], v[8:9] offset0:122 offset1:247
	s_waitcnt vmcnt(10)
	ds_write2_b64 v20, v[12:13], v[14:15] offset0:116 offset1:241
	;; [unrolled: 2-line block ×7, first 2 shown]
	s_and_saveexec_b64 s[6:7], vcc
	s_cbranch_execz .LBB0_12
; %bb.11:
	v_add_co_u32_e32 v0, vcc, 0x3000, v30
	v_mov_b32_e32 v28, 0x7c
	s_nop 0
	v_addc_co_u32_e32 v1, vcc, 0, v31, vcc
	global_load_dwordx2 v[0:1], v[0:1], off offset:3712
	s_waitcnt vmcnt(0)
	ds_write_b64 v29, v[0:1] offset:16000
.LBB0_12:
	s_or_b64 exec, exec, s[6:7]
.LBB0_13:
	s_or_b64 exec, exec, s[2:3]
	v_lshlrev_b32_e32 v0, 3, v28
	v_add_u32_e32 v46, 0, v0
	s_waitcnt lgkmcnt(0)
	s_barrier
	v_sub_u32_e32 v4, 0, v0
	ds_read_b32 v1, v46
	ds_read_b32 v2, v4 offset:16000
	s_add_u32 s2, s4, 0x3e58
	s_addc_u32 s3, s5, 0
	v_cmp_ne_u32_e32 vcc, 0, v28
	s_waitcnt lgkmcnt(0)
	v_add_f32_e32 v0, v2, v1
	v_sub_f32_e32 v1, v1, v2
                                        ; implicit-def: $vgpr2_vgpr3
	s_and_saveexec_b64 s[6:7], vcc
	s_xor_b64 s[6:7], exec, s[6:7]
	s_cbranch_execz .LBB0_15
; %bb.14:
	v_mov_b32_e32 v29, 0
	v_lshl_add_u64 v[2:3], v[28:29], 3, s[2:3]
	global_load_dwordx2 v[6:7], v[2:3], off
	ds_read_b32 v5, v4 offset:16004
	ds_read_b32 v11, v46 offset:4
	v_mov_b32_e32 v8, v1
	v_mov_b32_e32 v10, v0
	;; [unrolled: 1-line block ×3, first 2 shown]
	v_mov_b64_e32 v[2:3], v[28:29]
	s_waitcnt lgkmcnt(0)
	v_add_f32_e32 v9, v5, v11
	v_sub_f32_e32 v11, v11, v5
	v_mov_b32_e32 v12, v9
	s_waitcnt vmcnt(0)
	v_pk_mul_f32 v[14:15], v[8:9], v[6:7] op_sel:[0,1]
	v_pk_fma_f32 v[8:9], v[8:9], v[6:7], v[10:11] op_sel:[0,1,0]
	v_mov_b32_e32 v1, v15
	v_mov_b32_e32 v15, v11
	v_pk_fma_f32 v[16:17], v[6:7], v[12:13], v[8:9] neg_lo:[1,0,0] neg_hi:[1,0,0]
	v_pk_fma_f32 v[8:9], v[6:7], v[12:13], v[8:9] op_sel_hi:[0,1,1]
	v_pk_add_f32 v[0:1], v[0:1], v[14:15] neg_lo:[0,1] neg_hi:[0,1]
	v_mov_b32_e32 v17, v9
	v_pk_fma_f32 v[0:1], v[6:7], v[12:13], v[0:1] op_sel_hi:[0,1,1]
	ds_write_b64 v4, v[0:1] offset:16000
	v_mov_b64_e32 v[0:1], v[16:17]
.LBB0_15:
	s_andn2_saveexec_b64 s[6:7], s[6:7]
	s_cbranch_execz .LBB0_17
; %bb.16:
	v_mov_b32_e32 v5, 0
	ds_read_b64 v[2:3], v5 offset:8000
	s_mov_b32 s8, 2.0
	s_mov_b32 s9, -2.0
	s_waitcnt lgkmcnt(0)
	v_pk_mul_f32 v[2:3], v[2:3], s[8:9]
	ds_write_b64 v5, v[2:3] offset:8000
	v_mov_b64_e32 v[2:3], 0
.LBB0_17:
	s_or_b64 exec, exec, s[6:7]
	v_lshl_add_u64 v[2:3], v[2:3], 3, s[2:3]
	global_load_dwordx2 v[6:7], v[2:3], off offset:1000
	global_load_dwordx2 v[8:9], v[2:3], off offset:2000
	;; [unrolled: 1-line block ×3, first 2 shown]
	ds_write_b64 v46, v[0:1]
	global_load_dwordx2 v[0:1], v[2:3], off offset:4000
	s_movk_i32 s2, 0x1000
	v_add_co_u32_e32 v2, vcc, s2, v2
	ds_read_b64 v[12:13], v4 offset:15000
	ds_read_b64 v[14:15], v46 offset:1000
	v_addc_co_u32_e32 v3, vcc, 0, v3, vcc
	global_load_dwordx2 v[16:17], v[2:3], off offset:904
	v_add_u32_e32 v5, 0x1400, v46
	s_waitcnt lgkmcnt(0)
	v_pk_add_f32 v[18:19], v[14:15], v[12:13]
	v_pk_add_f32 v[12:13], v[14:15], v[12:13] neg_lo:[0,1] neg_hi:[0,1]
	v_mov_b32_e32 v14, v19
	v_mov_b32_e32 v15, v12
	;; [unrolled: 1-line block ×3, first 2 shown]
	v_add_u32_e32 v24, 0x2400, v46
	s_mov_b32 s6, 0x3f737871
	s_mov_b32 s8, 0x3f167918
	;; [unrolled: 1-line block ×3, first 2 shown]
	v_cmp_gt_u32_e32 vcc, 25, v28
	s_waitcnt vmcnt(4)
	v_pk_mul_f32 v[20:21], v[14:15], v[6:7] op_sel:[0,1]
	s_nop 0
	v_pk_add_f32 v[22:23], v[18:19], v[20:21] op_sel:[0,1] op_sel_hi:[1,0]
	v_mov_b32_e32 v19, v20
	v_mov_b32_e32 v12, v21
	v_pk_fma_f32 v[20:21], v[6:7], v[14:15], v[22:23] neg_lo:[1,0,0] neg_hi:[1,0,0]
	v_pk_fma_f32 v[22:23], v[6:7], v[14:15], v[22:23] op_sel_hi:[0,1,1]
	v_pk_add_f32 v[12:13], v[18:19], v[12:13] neg_lo:[0,1] neg_hi:[0,1]
	v_mov_b32_e32 v21, v23
	v_pk_fma_f32 v[6:7], v[6:7], v[14:15], v[12:13] op_sel_hi:[0,1,1]
	ds_write_b64 v46, v[20:21] offset:1000
	ds_write_b64 v4, v[6:7] offset:15000
	ds_read_b64 v[6:7], v4 offset:14000
	ds_read_b64 v[12:13], v46 offset:2000
	global_load_dwordx2 v[14:15], v[2:3], off offset:1904
	s_waitcnt lgkmcnt(0)
	v_pk_add_f32 v[18:19], v[12:13], v[6:7]
	v_pk_add_f32 v[6:7], v[12:13], v[6:7] neg_lo:[0,1] neg_hi:[0,1]
	v_mov_b32_e32 v12, v19
	v_mov_b32_e32 v13, v6
	;; [unrolled: 1-line block ×3, first 2 shown]
	s_waitcnt vmcnt(4)
	v_pk_mul_f32 v[20:21], v[12:13], v[8:9] op_sel:[0,1]
	s_nop 0
	v_pk_add_f32 v[22:23], v[18:19], v[20:21] op_sel:[0,1] op_sel_hi:[1,0]
	v_mov_b32_e32 v19, v20
	v_mov_b32_e32 v6, v21
	v_pk_fma_f32 v[20:21], v[8:9], v[12:13], v[22:23] neg_lo:[1,0,0] neg_hi:[1,0,0]
	v_pk_fma_f32 v[22:23], v[8:9], v[12:13], v[22:23] op_sel_hi:[0,1,1]
	v_pk_add_f32 v[6:7], v[18:19], v[6:7] neg_lo:[0,1] neg_hi:[0,1]
	v_mov_b32_e32 v21, v23
	v_pk_fma_f32 v[6:7], v[8:9], v[12:13], v[6:7] op_sel_hi:[0,1,1]
	ds_write_b64 v46, v[20:21] offset:2000
	ds_write_b64 v4, v[6:7] offset:14000
	ds_read_b64 v[6:7], v4 offset:13000
	ds_read_b64 v[8:9], v46 offset:3000
	global_load_dwordx2 v[2:3], v[2:3], off offset:2904
	s_waitcnt lgkmcnt(0)
	v_pk_add_f32 v[12:13], v[8:9], v[6:7]
	v_pk_add_f32 v[6:7], v[8:9], v[6:7] neg_lo:[0,1] neg_hi:[0,1]
	v_mov_b32_e32 v8, v13
	v_mov_b32_e32 v9, v6
	v_mov_b32_e32 v13, v7
	s_waitcnt vmcnt(4)
	v_pk_mul_f32 v[18:19], v[8:9], v[10:11] op_sel:[0,1]
	s_nop 0
	v_pk_add_f32 v[20:21], v[12:13], v[18:19] op_sel:[0,1] op_sel_hi:[1,0]
	v_mov_b32_e32 v13, v18
	v_mov_b32_e32 v6, v19
	v_pk_fma_f32 v[18:19], v[10:11], v[8:9], v[20:21] neg_lo:[1,0,0] neg_hi:[1,0,0]
	v_pk_fma_f32 v[20:21], v[10:11], v[8:9], v[20:21] op_sel_hi:[0,1,1]
	v_pk_add_f32 v[6:7], v[12:13], v[6:7] neg_lo:[0,1] neg_hi:[0,1]
	v_mov_b32_e32 v19, v21
	v_pk_fma_f32 v[6:7], v[10:11], v[8:9], v[6:7] op_sel_hi:[0,1,1]
	ds_write_b64 v46, v[18:19] offset:3000
	ds_write_b64 v4, v[6:7] offset:13000
	ds_read_b64 v[6:7], v4 offset:12000
	ds_read_b64 v[8:9], v46 offset:4000
	s_waitcnt lgkmcnt(0)
	v_pk_add_f32 v[10:11], v[8:9], v[6:7]
	v_pk_add_f32 v[6:7], v[8:9], v[6:7] neg_lo:[0,1] neg_hi:[0,1]
	v_mov_b32_e32 v8, v11
	v_mov_b32_e32 v9, v6
	v_mov_b32_e32 v11, v7
	s_waitcnt vmcnt(3)
	v_pk_mul_f32 v[12:13], v[8:9], v[0:1] op_sel:[0,1]
	s_nop 0
	v_pk_add_f32 v[18:19], v[10:11], v[12:13] op_sel:[0,1] op_sel_hi:[1,0]
	v_mov_b32_e32 v11, v12
	v_mov_b32_e32 v6, v13
	v_pk_fma_f32 v[12:13], v[0:1], v[8:9], v[18:19] neg_lo:[1,0,0] neg_hi:[1,0,0]
	v_pk_fma_f32 v[18:19], v[0:1], v[8:9], v[18:19] op_sel_hi:[0,1,1]
	v_pk_add_f32 v[6:7], v[10:11], v[6:7] neg_lo:[0,1] neg_hi:[0,1]
	v_mov_b32_e32 v13, v19
	v_pk_fma_f32 v[0:1], v[0:1], v[8:9], v[6:7] op_sel_hi:[0,1,1]
	ds_write_b64 v46, v[12:13] offset:4000
	ds_write_b64 v4, v[0:1] offset:12000
	ds_read_b64 v[0:1], v4 offset:11000
	ds_read_b64 v[6:7], v46 offset:5000
	;; [unrolled: 21-line block ×3, first 2 shown]
	v_add_u32_e32 v8, 0x2000, v46
	v_add_u32_e32 v9, 0x3000, v46
	s_waitcnt lgkmcnt(0)
	v_pk_add_f32 v[10:11], v[6:7], v[0:1]
	v_pk_add_f32 v[0:1], v[6:7], v[0:1] neg_lo:[0,1] neg_hi:[0,1]
	v_mov_b32_e32 v6, v11
	v_mov_b32_e32 v7, v0
	;; [unrolled: 1-line block ×3, first 2 shown]
	s_waitcnt vmcnt(1)
	v_pk_mul_f32 v[12:13], v[6:7], v[14:15] op_sel:[0,1]
	s_nop 0
	v_pk_add_f32 v[16:17], v[10:11], v[12:13] op_sel:[0,1] op_sel_hi:[1,0]
	v_mov_b32_e32 v11, v12
	v_mov_b32_e32 v0, v13
	v_pk_fma_f32 v[12:13], v[14:15], v[6:7], v[16:17] neg_lo:[1,0,0] neg_hi:[1,0,0]
	v_pk_fma_f32 v[16:17], v[14:15], v[6:7], v[16:17] op_sel_hi:[0,1,1]
	v_pk_add_f32 v[0:1], v[10:11], v[0:1] neg_lo:[0,1] neg_hi:[0,1]
	v_mov_b32_e32 v13, v17
	v_pk_fma_f32 v[0:1], v[14:15], v[6:7], v[0:1] op_sel_hi:[0,1,1]
	ds_write_b64 v46, v[12:13] offset:6000
	ds_write_b64 v4, v[0:1] offset:10000
	ds_read_b64 v[0:1], v4 offset:9000
	ds_read_b64 v[6:7], v46 offset:7000
	v_add_u32_e32 v11, 0xc00, v46
	v_add_u32_e32 v10, 0x1800, v46
	s_waitcnt lgkmcnt(0)
	v_pk_add_f32 v[12:13], v[6:7], v[0:1]
	v_pk_add_f32 v[0:1], v[6:7], v[0:1] neg_lo:[0,1] neg_hi:[0,1]
	v_mov_b32_e32 v6, v13
	v_mov_b32_e32 v7, v0
	;; [unrolled: 1-line block ×3, first 2 shown]
	s_waitcnt vmcnt(0)
	v_pk_mul_f32 v[14:15], v[6:7], v[2:3] op_sel:[0,1]
	s_nop 0
	v_pk_add_f32 v[16:17], v[12:13], v[14:15] op_sel:[0,1] op_sel_hi:[1,0]
	v_mov_b32_e32 v13, v14
	v_mov_b32_e32 v0, v15
	v_pk_fma_f32 v[14:15], v[2:3], v[6:7], v[16:17] neg_lo:[1,0,0] neg_hi:[1,0,0]
	v_pk_fma_f32 v[16:17], v[2:3], v[6:7], v[16:17] op_sel_hi:[0,1,1]
	v_pk_add_f32 v[0:1], v[12:13], v[0:1] neg_lo:[0,1] neg_hi:[0,1]
	v_mov_b32_e32 v15, v17
	v_pk_fma_f32 v[0:1], v[2:3], v[6:7], v[0:1] op_sel_hi:[0,1,1]
	ds_write_b64 v46, v[14:15] offset:7000
	ds_write_b64 v4, v[0:1] offset:9000
	s_waitcnt lgkmcnt(0)
	s_barrier
	s_barrier
	ds_read2_b64 v[12:15], v46 offset1:125
	ds_read2_b64 v[16:19], v11 offset0:16 offset1:141
	ds_read2_b64 v[20:23], v10 offset0:32 offset1:157
	;; [unrolled: 1-line block ×6, first 2 shown]
	s_waitcnt lgkmcnt(5)
	v_pk_add_f32 v[36:37], v[12:13], v[16:17]
	s_waitcnt lgkmcnt(4)
	v_pk_add_f32 v[48:49], v[16:17], v[20:21] neg_lo:[0,1] neg_hi:[0,1]
	s_waitcnt lgkmcnt(2)
	v_pk_add_f32 v[42:43], v[16:17], v[32:33] neg_lo:[0,1] neg_hi:[0,1]
	v_pk_add_f32 v[40:41], v[16:17], v[32:33]
	v_pk_add_f32 v[52:53], v[20:21], v[16:17] neg_lo:[0,1] neg_hi:[0,1]
	v_pk_add_f32 v[16:17], v[14:15], v[18:19]
	v_add_u32_e32 v11, 0x2c00, v46
	v_pk_add_f32 v[16:17], v[16:17], v[22:23]
	v_pk_add_f32 v[38:39], v[20:21], v[24:25]
	;; [unrolled: 1-line block ×3, first 2 shown]
	v_pk_add_f32 v[44:45], v[20:21], v[24:25] neg_lo:[0,1] neg_hi:[0,1]
	v_pk_add_f32 v[36:37], v[36:37], v[20:21]
	v_pk_add_f32 v[20:21], v[22:23], v[26:27]
	v_pk_add_f32 v[56:57], v[18:19], v[22:23] neg_lo:[0,1] neg_hi:[0,1]
	v_pk_add_f32 v[58:59], v[22:23], v[18:19] neg_lo:[0,1] neg_hi:[0,1]
	;; [unrolled: 1-line block ×3, first 2 shown]
	v_pk_add_f32 v[62:63], v[18:19], v[34:35]
	v_pk_add_f32 v[68:69], v[16:17], v[34:35]
	ds_read2_b64 v[16:19], v11 offset0:42 offset1:167
	v_add_u32_e32 v11, 0x3800, v46
	v_pk_add_f32 v[54:55], v[22:23], v[26:27] neg_lo:[0,1] neg_hi:[0,1]
	v_pk_fma_f32 v[72:73], v[20:21], 0.5, v[14:15] op_sel_hi:[1,0,1] neg_lo:[1,0,0] neg_hi:[1,0,0]
	ds_read2_b64 v[20:23], v11 offset0:58 offset1:183
	v_pk_add_f32 v[36:37], v[36:37], v[24:25]
	v_add_u32_e32 v11, 0x400, v46
	v_pk_add_f32 v[50:51], v[32:33], v[24:25] neg_lo:[0,1] neg_hi:[0,1]
	v_pk_add_f32 v[24:25], v[24:25], v[32:33] neg_lo:[0,1] neg_hi:[0,1]
	v_pk_add_f32 v[66:67], v[36:37], v[32:33]
	v_pk_fma_f32 v[32:33], v[38:39], 0.5, v[12:13] op_sel_hi:[1,0,1] neg_lo:[1,0,0] neg_hi:[1,0,0]
	v_pk_fma_f32 v[70:71], v[40:41], 0.5, v[12:13] op_sel_hi:[1,0,1] neg_lo:[1,0,0] neg_hi:[1,0,0]
	;; [unrolled: 1-line block ×3, first 2 shown]
	ds_read2_b64 v[12:15], v11 offset0:122 offset1:247
	v_pk_add_f32 v[64:65], v[34:35], v[26:27] neg_lo:[0,1] neg_hi:[0,1]
	v_pk_add_f32 v[26:27], v[26:27], v[34:35] neg_lo:[0,1] neg_hi:[0,1]
	s_waitcnt lgkmcnt(3)
	v_pk_add_f32 v[34:35], v[2:3], v[6:7] neg_lo:[0,1] neg_hi:[0,1]
	s_waitcnt lgkmcnt(1)
	v_pk_add_f32 v[36:37], v[22:23], v[18:19] neg_lo:[0,1] neg_hi:[0,1]
	v_pk_add_f32 v[38:39], v[2:3], v[22:23] neg_lo:[0,1] neg_hi:[0,1]
	v_pk_add_f32 v[34:35], v[34:35], v[36:37]
	v_pk_add_f32 v[36:37], v[6:7], v[18:19]
	v_pk_mul_f32 v[40:41], v[38:39], s[6:7] op_sel_hi:[1,0]
	s_waitcnt lgkmcnt(0)
	v_pk_fma_f32 v[36:37], v[36:37], 0.5, v[14:15] op_sel_hi:[1,0,1] neg_lo:[1,0,0] neg_hi:[1,0,0]
	v_pk_mul_f32 v[38:39], v[38:39], s[8:9] op_sel_hi:[1,0]
	v_pk_add_f32 v[74:75], v[36:37], v[40:41] op_sel:[0,1] op_sel_hi:[1,0]
	v_pk_add_f32 v[36:37], v[36:37], v[40:41] op_sel:[0,1] op_sel_hi:[1,0] neg_lo:[0,1] neg_hi:[0,1]
	v_pk_add_f32 v[40:41], v[6:7], v[18:19] neg_lo:[0,1] neg_hi:[0,1]
	v_pk_add_f32 v[48:49], v[48:49], v[50:51]
	v_pk_mul_f32 v[76:77], v[40:41], s[8:9] op_sel_hi:[1,0]
	v_pk_mul_f32 v[40:41], v[40:41], s[6:7] op_sel_hi:[1,0]
	v_pk_add_f32 v[74:75], v[74:75], v[76:77] op_sel:[0,1] op_sel_hi:[1,0]
	v_pk_add_f32 v[36:37], v[36:37], v[76:77] op_sel:[0,1] op_sel_hi:[1,0] neg_lo:[0,1] neg_hi:[0,1]
	v_mov_b32_e32 v77, v75
	v_mov_b32_e32 v76, v36
	;; [unrolled: 1-line block ×3, first 2 shown]
	v_pk_fma_f32 v[36:37], v[34:35], s[2:3], v[74:75] op_sel_hi:[1,0,1]
	v_pk_fma_f32 v[34:35], v[34:35], s[2:3], v[76:77] op_sel_hi:[1,0,1]
	v_pk_add_f32 v[74:75], v[6:7], v[2:3] neg_lo:[0,1] neg_hi:[0,1]
	v_pk_add_f32 v[76:77], v[18:19], v[22:23] neg_lo:[0,1] neg_hi:[0,1]
	v_pk_mul_f32 v[50:51], v[42:43], s[6:7] op_sel_hi:[1,0]
	v_pk_add_f32 v[74:75], v[74:75], v[76:77]
	v_pk_add_f32 v[76:77], v[2:3], v[22:23]
	;; [unrolled: 1-line block ×3, first 2 shown]
	v_pk_fma_f32 v[76:77], v[76:77], 0.5, v[14:15] op_sel_hi:[1,0,1] neg_lo:[1,0,0] neg_hi:[1,0,0]
	v_pk_mul_f32 v[42:43], v[42:43], s[8:9] op_sel_hi:[1,0]
	v_pk_add_f32 v[78:79], v[76:77], v[40:41] op_sel:[0,1] op_sel_hi:[1,0] neg_lo:[0,1] neg_hi:[0,1]
	v_pk_add_f32 v[40:41], v[76:77], v[40:41] op_sel:[0,1] op_sel_hi:[1,0]
	v_pk_add_f32 v[76:77], v[78:79], v[38:39] op_sel:[0,1] op_sel_hi:[1,0]
	v_pk_add_f32 v[38:39], v[40:41], v[38:39] op_sel:[0,1] op_sel_hi:[1,0] neg_lo:[0,1] neg_hi:[0,1]
	v_mov_b32_e32 v79, v77
	v_mov_b32_e32 v78, v38
	;; [unrolled: 1-line block ×3, first 2 shown]
	v_pk_fma_f32 v[40:41], v[74:75], s[2:3], v[76:77] op_sel_hi:[1,0,1]
	v_pk_fma_f32 v[38:39], v[74:75], s[2:3], v[78:79] op_sel_hi:[1,0,1]
	v_pk_add_f32 v[74:75], v[32:33], v[50:51] op_sel:[0,1] op_sel_hi:[1,0]
	v_pk_add_f32 v[32:33], v[32:33], v[50:51] op_sel:[0,1] op_sel_hi:[1,0] neg_lo:[0,1] neg_hi:[0,1]
	v_pk_mul_f32 v[50:51], v[44:45], s[8:9] op_sel_hi:[1,0]
	v_pk_mul_f32 v[44:45], v[44:45], s[6:7] op_sel_hi:[1,0]
	v_pk_add_f32 v[32:33], v[32:33], v[50:51] op_sel:[0,1] op_sel_hi:[1,0] neg_lo:[0,1] neg_hi:[0,1]
	v_pk_add_f32 v[52:53], v[70:71], v[44:45] op_sel:[0,1] op_sel_hi:[1,0] neg_lo:[0,1] neg_hi:[0,1]
	v_pk_add_f32 v[44:45], v[70:71], v[44:45] op_sel:[0,1] op_sel_hi:[1,0]
	v_pk_add_f32 v[50:51], v[74:75], v[50:51] op_sel:[0,1] op_sel_hi:[1,0]
	v_pk_add_f32 v[44:45], v[44:45], v[42:43] op_sel:[0,1] op_sel_hi:[1,0] neg_lo:[0,1] neg_hi:[0,1]
	v_pk_add_f32 v[42:43], v[52:53], v[42:43] op_sel:[0,1] op_sel_hi:[1,0]
	v_mov_b32_e32 v53, v45
	v_mov_b32_e32 v52, v42
	;; [unrolled: 1-line block ×3, first 2 shown]
	v_pk_fma_f32 v[42:43], v[24:25], s[2:3], v[52:53] op_sel_hi:[1,0,1]
	v_pk_fma_f32 v[24:25], v[24:25], s[2:3], v[44:45] op_sel_hi:[1,0,1]
	v_mov_b32_e32 v44, v50
	v_mov_b32_e32 v45, v33
	;; [unrolled: 1-line block ×3, first 2 shown]
	v_pk_fma_f32 v[44:45], v[48:49], s[2:3], v[44:45] op_sel_hi:[1,0,1]
	v_pk_fma_f32 v[48:49], v[48:49], s[2:3], v[32:33] op_sel_hi:[1,0,1]
	v_pk_mul_f32 v[32:33], v[60:61], s[6:7] op_sel_hi:[1,0]
	v_pk_add_f32 v[50:51], v[56:57], v[64:65]
	v_pk_add_f32 v[52:53], v[72:73], v[32:33] op_sel:[0,1] op_sel_hi:[1,0]
	v_pk_add_f32 v[32:33], v[72:73], v[32:33] op_sel:[0,1] op_sel_hi:[1,0] neg_lo:[0,1] neg_hi:[0,1]
	v_pk_mul_f32 v[56:57], v[54:55], s[8:9] op_sel_hi:[1,0]
	v_pk_add_f32 v[2:3], v[14:15], v[2:3]
	v_pk_add_f32 v[64:65], v[32:33], v[56:57] op_sel:[0,1] op_sel_hi:[1,0] neg_lo:[0,1] neg_hi:[0,1]
	v_pk_mul_f32 v[32:33], v[54:55], s[6:7] op_sel_hi:[1,0]
	v_pk_add_f32 v[52:53], v[52:53], v[56:57] op_sel:[0,1] op_sel_hi:[1,0]
	v_pk_add_f32 v[54:55], v[62:63], v[32:33] op_sel:[0,1] op_sel_hi:[1,0] neg_lo:[0,1] neg_hi:[0,1]
	v_pk_add_f32 v[32:33], v[62:63], v[32:33] op_sel:[0,1] op_sel_hi:[1,0]
	v_pk_mul_f32 v[56:57], v[60:61], s[8:9] op_sel_hi:[1,0]
	v_pk_add_f32 v[2:3], v[2:3], v[6:7]
	v_pk_add_f32 v[26:27], v[58:59], v[26:27]
	v_pk_add_f32 v[58:59], v[32:33], v[56:57] op_sel:[0,1] op_sel_hi:[1,0] neg_lo:[0,1] neg_hi:[0,1]
	v_pk_add_f32 v[32:33], v[54:55], v[56:57] op_sel:[0,1] op_sel_hi:[1,0]
	v_pk_add_f32 v[2:3], v[2:3], v[18:19]
	v_mov_b32_e32 v54, v32
	v_mov_b32_e32 v55, v59
	;; [unrolled: 1-line block ×3, first 2 shown]
	v_pk_add_f32 v[32:33], v[2:3], v[22:23]
	v_lshlrev_b32_e32 v2, 5, v28
	v_pk_fma_f32 v[6:7], v[26:27], s[2:3], v[54:55] op_sel_hi:[1,0,1]
	v_pk_fma_f32 v[14:15], v[26:27], s[2:3], v[58:59] op_sel_hi:[1,0,1]
	v_mov_b32_e32 v18, v52
	v_mov_b32_e32 v19, v65
	;; [unrolled: 1-line block ×3, first 2 shown]
	v_add_u32_e32 v2, v46, v2
	v_add_u32_e32 v3, 0x1388, v2
	v_pk_fma_f32 v[18:19], v[50:51], s[2:3], v[18:19] op_sel_hi:[1,0,1]
	v_pk_fma_f32 v[22:23], v[50:51], s[2:3], v[64:65] op_sel_hi:[1,0,1]
	v_add_u32_e32 v11, 0x1398, v2
	s_barrier
	ds_write2_b64 v2, v[66:67], v[44:45] offset1:1
	ds_write2_b64 v2, v[42:43], v[24:25] offset0:2 offset1:3
	ds_write_b64 v2, v[48:49] offset:32
	ds_write2_b64 v3, v[68:69], v[18:19] offset1:1
	ds_write2_b64 v11, v[6:7], v[14:15] offset1:1
	ds_write_b64 v2, v[22:23] offset:5032
	v_pk_add_f32 v[6:7], v[4:5], v[16:17]
	v_pk_add_f32 v[14:15], v[0:1], v[20:21] neg_lo:[0,1] neg_hi:[0,1]
	v_pk_fma_f32 v[6:7], v[6:7], 0.5, v[12:13] op_sel_hi:[1,0,1] neg_lo:[1,0,0] neg_hi:[1,0,0]
	v_pk_mul_f32 v[18:19], v[14:15], s[6:7] op_sel_hi:[1,0]
	v_pk_add_f32 v[22:23], v[4:5], v[16:17] neg_lo:[0,1] neg_hi:[0,1]
	v_pk_add_f32 v[42:43], v[0:1], v[4:5] neg_lo:[0,1] neg_hi:[0,1]
	;; [unrolled: 1-line block ×3, first 2 shown]
	v_pk_add_f32 v[26:27], v[12:13], v[0:1]
	v_pk_mul_f32 v[24:25], v[22:23], s[8:9] op_sel_hi:[1,0]
	v_pk_add_f32 v[42:43], v[42:43], v[44:45]
	v_pk_add_f32 v[44:45], v[6:7], v[18:19] op_sel:[0,1] op_sel_hi:[1,0]
	v_pk_add_f32 v[6:7], v[6:7], v[18:19] op_sel:[0,1] op_sel_hi:[1,0] neg_lo:[0,1] neg_hi:[0,1]
	v_pk_add_f32 v[26:27], v[26:27], v[4:5]
	v_pk_add_f32 v[6:7], v[6:7], v[24:25] op_sel:[0,1] op_sel_hi:[1,0] neg_lo:[0,1] neg_hi:[0,1]
	v_pk_add_f32 v[18:19], v[44:45], v[24:25] op_sel:[0,1] op_sel_hi:[1,0]
	v_pk_add_f32 v[26:27], v[26:27], v[16:17]
	v_mov_b32_e32 v24, v18
	v_mov_b32_e32 v25, v7
	v_add_u32_e32 v29, 0x2710, v2
	v_pk_add_f32 v[26:27], v[26:27], v[20:21]
	v_pk_fma_f32 v[24:25], v[42:43], s[2:3], v[24:25] op_sel_hi:[1,0,1]
	ds_write2_b64 v29, v[26:27], v[24:25] offset1:1
	v_pk_add_f32 v[24:25], v[0:1], v[20:21]
	v_pk_add_f32 v[0:1], v[4:5], v[0:1] neg_lo:[0,1] neg_hi:[0,1]
	v_pk_add_f32 v[4:5], v[16:17], v[20:21] neg_lo:[0,1] neg_hi:[0,1]
	v_pk_fma_f32 v[12:13], v[24:25], 0.5, v[12:13] op_sel_hi:[1,0,1] neg_lo:[1,0,0] neg_hi:[1,0,0]
	v_pk_add_f32 v[0:1], v[0:1], v[4:5]
	v_pk_mul_f32 v[4:5], v[22:23], s[6:7] op_sel_hi:[1,0]
	v_pk_mul_f32 v[14:15], v[14:15], s[8:9] op_sel_hi:[1,0]
	v_pk_add_f32 v[16:17], v[12:13], v[4:5] op_sel:[0,1] op_sel_hi:[1,0] neg_lo:[0,1] neg_hi:[0,1]
	v_pk_add_f32 v[4:5], v[12:13], v[4:5] op_sel:[0,1] op_sel_hi:[1,0]
	v_pk_add_f32 v[12:13], v[16:17], v[14:15] op_sel:[0,1] op_sel_hi:[1,0]
	v_pk_add_f32 v[4:5], v[4:5], v[14:15] op_sel:[0,1] op_sel_hi:[1,0] neg_lo:[0,1] neg_hi:[0,1]
	v_mov_b32_e32 v14, v12
	v_mov_b32_e32 v15, v5
	;; [unrolled: 1-line block ×3, first 2 shown]
	v_add_u32_e32 v3, 0x2720, v2
	v_pk_fma_f32 v[14:15], v[0:1], s[2:3], v[14:15] op_sel_hi:[1,0,1]
	v_pk_fma_f32 v[0:1], v[0:1], s[2:3], v[4:5] op_sel_hi:[1,0,1]
	v_mov_b32_e32 v7, v19
	ds_write2_b64 v3, v[14:15], v[0:1] offset1:1
	v_pk_fma_f32 v[0:1], v[42:43], s[2:3], v[6:7] op_sel_hi:[1,0,1]
	ds_write_b64 v2, v[0:1] offset:10032
	s_and_saveexec_b64 s[2:3], vcc
	s_cbranch_execz .LBB0_19
; %bb.18:
	v_add_u32_e32 v0, 0x3a98, v2
	ds_write2_b64 v0, v[32:33], v[36:37] offset1:1
	v_add_u32_e32 v0, 0x3aa8, v2
	ds_write2_b64 v0, v[40:41], v[38:39] offset1:1
	ds_write_b64 v2, v[34:35] offset:15032
.LBB0_19:
	s_or_b64 exec, exec, s[2:3]
	v_add_u32_e32 v0, 0x600, v46
	s_waitcnt lgkmcnt(0)
	s_barrier
	ds_read2_b64 v[16:19], v46 offset1:125
	ds_read2_b64 v[0:3], v0 offset0:58 offset1:208
	ds_read2_b64 v[24:27], v10 offset0:32 offset1:157
	;; [unrolled: 1-line block ×4, first 2 shown]
	v_add_u32_e32 v8, 0x1000, v46
	ds_read2_b64 v[12:15], v8 offset0:13 offset1:138
	v_add_u32_e32 v8, 0x2800, v46
	ds_read2_b64 v[8:11], v8 offset0:45 offset1:170
	ds_read_b64 v[42:43], v46 offset:14800
	s_and_saveexec_b64 s[2:3], vcc
	s_cbranch_execz .LBB0_21
; %bb.20:
	ds_read_b64 v[32:33], v46 offset:3000
	ds_read_b64 v[36:37], v46 offset:6200
	ds_read_b64 v[40:41], v46 offset:9400
	ds_read_b64 v[38:39], v46 offset:12600
	ds_read_b64 v[34:35], v46 offset:15800
.LBB0_21:
	s_or_b64 exec, exec, s[2:3]
	v_add_u32_e32 v29, 0x177, v28
	s_mov_b32 s3, 0xcccd
	v_mul_u32_u24_sdwa v44, v29, s3 dst_sel:DWORD dst_unused:UNUSED_PAD src0_sel:WORD_0 src1_sel:DWORD
	v_lshrrev_b32_e32 v48, 18, v44
	v_mul_lo_u16_e32 v44, 5, v48
	v_sub_u16_e32 v49, v29, v44
	v_lshlrev_b32_e32 v44, 5, v49
	s_movk_i32 s2, 0xcd
	v_add_u16_e32 v47, 0x7d, v28
	global_load_dwordx4 v[50:53], v44, s[4:5]
	global_load_dwordx4 v[54:57], v44, s[4:5] offset:16
	v_mul_lo_u16_sdwa v44, v47, s2 dst_sel:DWORD dst_unused:UNUSED_PAD src0_sel:BYTE_0 src1_sel:DWORD
	v_lshrrev_b16_e32 v86, 10, v44
	v_mul_lo_u16_e32 v44, 5, v86
	v_mov_b32_e32 v45, 5
	v_sub_u16_e32 v87, v47, v44
	v_lshlrev_b32_sdwa v44, v45, v87 dst_sel:DWORD dst_unused:UNUSED_PAD src0_sel:DWORD src1_sel:BYTE_0
	global_load_dwordx4 v[58:61], v44, s[4:5]
	v_mul_lo_u16_sdwa v62, v28, s2 dst_sel:DWORD dst_unused:UNUSED_PAD src0_sel:BYTE_0 src1_sel:DWORD
	v_lshrrev_b16_e32 v82, 10, v62
	v_mul_lo_u16_e32 v62, 5, v82
	v_sub_u16_e32 v83, v28, v62
	global_load_dwordx4 v[62:65], v44, s[4:5] offset:16
	v_lshlrev_b32_sdwa v74, v45, v83 dst_sel:DWORD dst_unused:UNUSED_PAD src0_sel:DWORD src1_sel:BYTE_0
	s_mov_b32 s2, 0x3f737871
	s_mov_b32 s6, 0x3e9e377a
	s_waitcnt vmcnt(3) lgkmcnt(3)
	v_pk_mul_f32 v[44:45], v[36:37], v[50:51] op_sel:[1,1] op_sel_hi:[1,0]
	s_waitcnt lgkmcnt(2)
	v_pk_mul_f32 v[66:67], v[40:41], v[52:53] op_sel:[1,0]
	s_waitcnt vmcnt(2) lgkmcnt(1)
	v_pk_mul_f32 v[68:69], v[38:39], v[54:55] op_sel:[1,0]
	v_pk_fma_f32 v[70:71], v[36:37], v[50:51], v[44:45] neg_lo:[0,0,1] neg_hi:[0,0,1]
	v_pk_fma_f32 v[50:51], v[36:37], v[50:51], v[44:45] op_sel_hi:[0,1,1]
	s_waitcnt lgkmcnt(0)
	v_pk_mul_f32 v[36:37], v[34:35], v[56:57] op_sel:[1,0]
	v_pk_fma_f32 v[72:73], v[40:41], v[52:53], v[66:67] op_sel:[0,0,1] op_sel_hi:[1,1,0] neg_lo:[0,0,1] neg_hi:[0,0,1]
	v_pk_fma_f32 v[52:53], v[40:41], v[52:53], v[66:67] op_sel:[0,0,1] op_sel_hi:[0,1,0]
	s_waitcnt vmcnt(1)
	v_pk_mul_f32 v[40:41], v[58:59], v[12:13] op_sel:[0,1]
	v_pk_fma_f32 v[66:67], v[38:39], v[54:55], v[68:69] op_sel:[0,0,1] op_sel_hi:[1,1,0] neg_lo:[0,0,1] neg_hi:[0,0,1]
	v_pk_fma_f32 v[54:55], v[38:39], v[54:55], v[68:69] op_sel:[0,0,1] op_sel_hi:[0,1,0]
	v_pk_fma_f32 v[68:69], v[34:35], v[56:57], v[36:37] op_sel:[0,0,1] op_sel_hi:[1,1,0] neg_lo:[0,0,1] neg_hi:[0,0,1]
	v_pk_fma_f32 v[56:57], v[34:35], v[56:57], v[36:37] op_sel:[0,0,1] op_sel_hi:[0,1,0]
	v_pk_mul_f32 v[34:35], v[60:61], v[26:27] op_sel:[0,1]
	v_pk_fma_f32 v[44:45], v[58:59], v[12:13], v[40:41] op_sel:[0,0,1] op_sel_hi:[1,1,0] neg_lo:[0,0,1] neg_hi:[0,0,1]
	v_pk_fma_f32 v[12:13], v[58:59], v[12:13], v[40:41] op_sel:[0,0,1] op_sel_hi:[1,0,0]
	v_pk_fma_f32 v[58:59], v[60:61], v[26:27], v[34:35] op_sel:[0,0,1] op_sel_hi:[1,1,0] neg_lo:[0,0,1] neg_hi:[0,0,1]
	v_pk_fma_f32 v[26:27], v[60:61], v[26:27], v[34:35] op_sel:[0,0,1] op_sel_hi:[1,0,0]
	global_load_dwordx4 v[34:37], v74, s[4:5]
	global_load_dwordx4 v[38:41], v74, s[4:5] offset:16
	v_add_u32_e32 v50, 0xfa, v28
	v_mov_b32_e32 v45, v13
	v_mov_b32_e32 v59, v27
	v_mov_b32_e32 v71, v51
	v_mov_b32_e32 v73, v53
	v_mov_b32_e32 v67, v55
	v_mov_b32_e32 v69, v57
	v_pk_add_f32 v[56:57], v[66:67], v[68:69] neg_lo:[0,1] neg_hi:[0,1]
	s_waitcnt vmcnt(1)
	v_pk_mul_f32 v[60:61], v[36:37], v[24:25] op_sel:[0,1]
	s_nop 0
	v_pk_fma_f32 v[74:75], v[36:37], v[24:25], v[60:61] op_sel:[0,0,1] op_sel_hi:[1,1,0] neg_lo:[0,0,1] neg_hi:[0,0,1]
	v_pk_fma_f32 v[24:25], v[36:37], v[24:25], v[60:61] op_sel:[0,0,1] op_sel_hi:[1,0,0]
	v_pk_mul_f32 v[36:37], v[34:35], v[2:3] op_sel:[0,1]
	v_mov_b32_e32 v75, v25
	v_pk_fma_f32 v[60:61], v[34:35], v[2:3], v[36:37] op_sel:[0,0,1] op_sel_hi:[1,1,0] neg_lo:[0,0,1] neg_hi:[0,0,1]
	v_pk_fma_f32 v[2:3], v[34:35], v[2:3], v[36:37] op_sel:[0,0,1] op_sel_hi:[1,0,0]
	v_pk_mul_f32 v[34:35], v[62:63], v[8:9] op_sel:[0,1]
	v_mov_b32_e32 v2, v65
	v_pk_fma_f32 v[76:77], v[62:63], v[8:9], v[34:35] op_sel:[0,0,1] op_sel_hi:[1,1,0] neg_lo:[0,0,1] neg_hi:[0,0,1]
	v_pk_fma_f32 v[34:35], v[62:63], v[8:9], v[34:35] op_sel:[0,0,1] op_sel_hi:[1,0,0]
	v_pk_mul_f32 v[8:9], v[22:23], v[2:3] op_sel_hi:[1,0]
	v_mov_b32_e32 v61, v3
	v_pk_fma_f32 v[62:63], v[22:23], v[64:65], v[8:9] op_sel:[0,0,1] op_sel_hi:[1,1,0] neg_lo:[0,0,1] neg_hi:[0,0,1]
	v_pk_fma_f32 v[36:37], v[22:23], v[64:65], v[8:9] op_sel:[0,0,1] op_sel_hi:[1,0,0]
	s_waitcnt vmcnt(0)
	v_pk_mul_f32 v[8:9], v[40:41], v[20:21] op_sel:[0,1]
	v_pk_add_f32 v[2:3], v[60:61], v[74:75] neg_lo:[0,1] neg_hi:[0,1]
	v_pk_fma_f32 v[64:65], v[40:41], v[20:21], v[8:9] op_sel:[0,0,1] op_sel_hi:[1,1,0] neg_lo:[0,0,1] neg_hi:[0,0,1]
	v_pk_fma_f32 v[8:9], v[40:41], v[20:21], v[8:9] op_sel:[0,0,1] op_sel_hi:[1,0,0]
	v_pk_mul_f32 v[20:21], v[38:39], v[6:7] op_sel:[0,1]
	v_mov_b32_e32 v65, v9
	v_pk_fma_f32 v[40:41], v[38:39], v[6:7], v[20:21] op_sel:[0,0,1] op_sel_hi:[1,1,0] neg_lo:[0,0,1] neg_hi:[0,0,1]
	v_pk_fma_f32 v[6:7], v[38:39], v[6:7], v[20:21] op_sel:[0,0,1] op_sel_hi:[1,0,0]
	v_pk_add_f32 v[24:25], v[60:61], v[64:65] neg_lo:[0,1] neg_hi:[0,1]
	v_mov_b32_e32 v41, v7
	v_pk_add_f32 v[6:7], v[64:65], v[40:41] neg_lo:[0,1] neg_hi:[0,1]
	v_pk_mul_f32 v[8:9], v[24:25], s[2:3] op_sel_hi:[1,0]
	v_pk_add_f32 v[2:3], v[2:3], v[6:7]
	v_pk_add_f32 v[6:7], v[74:75], v[40:41]
	v_pk_add_f32 v[38:39], v[74:75], v[40:41] neg_lo:[0,1] neg_hi:[0,1]
	v_pk_fma_f32 v[6:7], v[6:7], 0.5, v[16:17] op_sel_hi:[1,0,1] neg_lo:[1,0,0] neg_hi:[1,0,0]
	v_mov_b32_e32 v36, 3
	v_pk_add_f32 v[20:21], v[6:7], v[8:9] op_sel:[0,1] op_sel_hi:[1,0]
	v_pk_add_f32 v[6:7], v[6:7], v[8:9] op_sel:[0,1] op_sel_hi:[1,0] neg_lo:[0,1] neg_hi:[0,1]
	v_pk_mul_f32 v[8:9], v[38:39], s[8:9] op_sel_hi:[1,0]
	v_pk_mul_f32 v[38:39], v[38:39], s[2:3] op_sel_hi:[1,0]
	v_pk_add_f32 v[78:79], v[6:7], v[8:9] op_sel:[0,1] op_sel_hi:[1,0] neg_lo:[0,1] neg_hi:[0,1]
	v_mul_u32_u24_e32 v6, 0xc8, v82
	v_lshlrev_b32_sdwa v7, v36, v83 dst_sel:DWORD dst_unused:UNUSED_PAD src0_sel:DWORD src1_sel:BYTE_0
	v_add3_u32 v12, 0, v6, v7
	v_mul_u32_u24_sdwa v6, v50, s3 dst_sel:DWORD dst_unused:UNUSED_PAD src0_sel:WORD_0 src1_sel:DWORD
	v_lshrrev_b32_e32 v88, 18, v6
	v_mul_lo_u16_e32 v6, 5, v88
	v_sub_u16_e32 v89, v50, v6
	v_pk_add_f32 v[6:7], v[16:17], v[60:61]
	v_lshlrev_b32_e32 v26, 5, v89
	v_pk_add_f32 v[6:7], v[6:7], v[74:75]
	v_pk_add_f32 v[80:81], v[20:21], v[8:9] op_sel:[0,1] op_sel_hi:[1,0]
	v_pk_add_f32 v[6:7], v[6:7], v[40:41]
	v_pk_add_f32 v[74:75], v[74:75], v[60:61] neg_lo:[0,1] neg_hi:[0,1]
	v_pk_add_f32 v[82:83], v[6:7], v[64:65]
	global_load_dwordx4 v[6:9], v26, s[4:5] offset:16
	global_load_dwordx4 v[20:23], v26, s[4:5]
	v_pk_add_f32 v[60:61], v[60:61], v[64:65]
	v_pk_mul_f32 v[24:25], v[24:25], s[8:9] op_sel_hi:[1,0]
	v_pk_fma_f32 v[16:17], v[60:61], 0.5, v[16:17] op_sel_hi:[1,0,1] neg_lo:[1,0,0] neg_hi:[1,0,0]
	v_pk_add_f32 v[40:41], v[40:41], v[64:65] neg_lo:[0,1] neg_hi:[0,1]
	v_pk_add_f32 v[60:61], v[16:17], v[38:39] op_sel:[0,1] op_sel_hi:[1,0] neg_lo:[0,1] neg_hi:[0,1]
	v_pk_add_f32 v[16:17], v[16:17], v[38:39] op_sel:[0,1] op_sel_hi:[1,0]
	v_mov_b32_e32 v84, v80
	v_pk_add_f32 v[16:17], v[16:17], v[24:25] op_sel:[0,1] op_sel_hi:[1,0] neg_lo:[0,1] neg_hi:[0,1]
	v_pk_add_f32 v[24:25], v[60:61], v[24:25] op_sel:[0,1] op_sel_hi:[1,0]
	v_mov_b32_e32 v85, v79
	v_pk_add_f32 v[40:41], v[74:75], v[40:41]
	v_mov_b32_e32 v38, v24
	v_mov_b32_e32 v39, v17
	;; [unrolled: 1-line block ×4, first 2 shown]
	v_pk_fma_f32 v[84:85], v[2:3], s[6:7], v[84:85] op_sel_hi:[1,0,1]
	v_pk_fma_f32 v[24:25], v[40:41], s[6:7], v[38:39] op_sel_hi:[1,0,1]
	;; [unrolled: 1-line block ×4, first 2 shown]
	v_mov_b32_e32 v77, v35
	v_mov_b32_e32 v63, v37
	s_barrier
	ds_write2_b64 v12, v[82:83], v[84:85] offset1:5
	ds_write2_b64 v12, v[24:25], v[16:17] offset0:10 offset1:15
	ds_write_b64 v12, v[2:3] offset:160
	v_pk_add_f32 v[2:3], v[44:45], v[58:59] neg_lo:[0,1] neg_hi:[0,1]
	v_pk_add_f32 v[12:13], v[62:63], v[76:77] neg_lo:[0,1] neg_hi:[0,1]
	;; [unrolled: 1-line block ×3, first 2 shown]
	v_pk_add_f32 v[2:3], v[2:3], v[12:13]
	v_pk_add_f32 v[12:13], v[58:59], v[76:77]
	v_pk_mul_f32 v[24:25], v[16:17], s[2:3] op_sel_hi:[1,0]
	v_pk_fma_f32 v[12:13], v[12:13], 0.5, v[18:19] op_sel_hi:[1,0,1] neg_lo:[1,0,0] neg_hi:[1,0,0]
	v_pk_add_f32 v[38:39], v[70:71], v[68:69] neg_lo:[0,1] neg_hi:[0,1]
	v_pk_add_f32 v[26:27], v[12:13], v[24:25] op_sel:[0,1] op_sel_hi:[1,0]
	v_pk_add_f32 v[12:13], v[12:13], v[24:25] op_sel:[0,1] op_sel_hi:[1,0] neg_lo:[0,1] neg_hi:[0,1]
	v_pk_add_f32 v[24:25], v[58:59], v[76:77] neg_lo:[0,1] neg_hi:[0,1]
	v_pk_mul_f32 v[40:41], v[38:39], s[2:3] op_sel_hi:[1,0]
	v_pk_mul_f32 v[34:35], v[24:25], s[8:9] op_sel_hi:[1,0]
	;; [unrolled: 1-line block ×3, first 2 shown]
	v_pk_add_f32 v[12:13], v[12:13], v[34:35] op_sel:[0,1] op_sel_hi:[1,0] neg_lo:[0,1] neg_hi:[0,1]
	v_pk_add_f32 v[26:27], v[26:27], v[34:35] op_sel:[0,1] op_sel_hi:[1,0]
	v_lshlrev_b32_sdwa v34, v36, v87 dst_sel:DWORD dst_unused:UNUSED_PAD src0_sel:DWORD src1_sel:BYTE_0
	v_mul_u32_u24_e32 v35, 0xc8, v86
	v_add3_u32 v60, 0, v35, v34
	v_pk_add_f32 v[34:35], v[18:19], v[44:45]
	v_mov_b32_e32 v36, v26
	v_pk_add_f32 v[34:35], v[34:35], v[58:59]
	v_mov_b32_e32 v37, v13
	v_pk_add_f32 v[34:35], v[34:35], v[76:77]
	v_pk_fma_f32 v[36:37], v[2:3], s[6:7], v[36:37] op_sel_hi:[1,0,1]
	v_pk_add_f32 v[34:35], v[34:35], v[62:63]
	ds_write2_b64 v60, v[34:35], v[36:37] offset1:5
	v_pk_add_f32 v[34:35], v[44:45], v[62:63]
	v_pk_add_f32 v[36:37], v[68:69], v[66:67] neg_lo:[0,1] neg_hi:[0,1]
	v_pk_fma_f32 v[18:19], v[34:35], 0.5, v[18:19] op_sel_hi:[1,0,1] neg_lo:[1,0,0] neg_hi:[1,0,0]
	v_pk_add_f32 v[34:35], v[70:71], v[72:73] neg_lo:[0,1] neg_hi:[0,1]
	v_mov_b32_e32 v13, v27
	v_pk_add_f32 v[34:35], v[34:35], v[36:37]
	v_pk_add_f32 v[36:37], v[72:73], v[66:67]
	v_pk_fma_f32 v[2:3], v[2:3], s[6:7], v[12:13] op_sel_hi:[1,0,1]
	v_pk_fma_f32 v[36:37], v[36:37], 0.5, v[32:33] op_sel_hi:[1,0,1] neg_lo:[1,0,0] neg_hi:[1,0,0]
	ds_write_b64 v60, v[2:3] offset:160
	v_pk_add_f32 v[52:53], v[36:37], v[40:41] op_sel:[0,1] op_sel_hi:[1,0]
	v_pk_add_f32 v[36:37], v[36:37], v[40:41] op_sel:[0,1] op_sel_hi:[1,0] neg_lo:[0,1] neg_hi:[0,1]
	v_pk_add_f32 v[40:41], v[72:73], v[66:67] neg_lo:[0,1] neg_hi:[0,1]
	v_mul_u32_u24_e32 v2, 0xc8, v88
	v_pk_mul_f32 v[54:55], v[40:41], s[8:9] op_sel_hi:[1,0]
	v_lshlrev_b32_e32 v3, 3, v89
	v_pk_add_f32 v[52:53], v[52:53], v[54:55] op_sel:[0,1] op_sel_hi:[1,0]
	v_pk_add_f32 v[36:37], v[36:37], v[54:55] op_sel:[0,1] op_sel_hi:[1,0] neg_lo:[0,1] neg_hi:[0,1]
	v_add3_u32 v26, 0, v2, v3
	v_mov_b32_e32 v55, v53
	v_mov_b32_e32 v53, v37
	;; [unrolled: 1-line block ×3, first 2 shown]
	v_pk_fma_f32 v[36:37], v[34:35], s[6:7], v[52:53] op_sel_hi:[1,0,1]
	v_pk_add_f32 v[52:53], v[70:71], v[68:69]
	v_pk_fma_f32 v[34:35], v[34:35], s[6:7], v[54:55] op_sel_hi:[1,0,1]
	s_waitcnt vmcnt(0)
	v_pk_mul_f32 v[2:3], v[14:15], v[20:21] op_sel:[0,1]
	v_pk_fma_f32 v[52:53], v[52:53], 0.5, v[32:33] op_sel_hi:[1,0,1] neg_lo:[1,0,0] neg_hi:[1,0,0]
	v_pk_fma_f32 v[12:13], v[14:15], v[20:21], v[2:3] op_sel:[0,0,1] op_sel_hi:[1,1,0] neg_lo:[0,0,1] neg_hi:[0,0,1]
	v_pk_fma_f32 v[2:3], v[14:15], v[20:21], v[2:3] op_sel:[0,0,1] op_sel_hi:[1,0,0]
	v_pk_add_f32 v[54:55], v[72:73], v[70:71] neg_lo:[0,1] neg_hi:[0,1]
	v_mov_b32_e32 v2, v23
	v_pk_mul_f32 v[40:41], v[40:41], s[2:3] op_sel_hi:[1,0]
	v_mov_b32_e32 v13, v3
	v_pk_mul_f32 v[2:3], v[4:5], v[2:3] op_sel_hi:[1,0]
	v_pk_add_f32 v[54:55], v[54:55], v[56:57]
	v_pk_add_f32 v[56:57], v[52:53], v[40:41] op_sel:[0,1] op_sel_hi:[1,0] neg_lo:[0,1] neg_hi:[0,1]
	v_pk_add_f32 v[40:41], v[52:53], v[40:41] op_sel:[0,1] op_sel_hi:[1,0]
	v_pk_fma_f32 v[14:15], v[4:5], v[22:23], v[2:3] op_sel:[0,0,1] op_sel_hi:[1,1,0] neg_lo:[0,0,1] neg_hi:[0,0,1]
	v_pk_fma_f32 v[2:3], v[4:5], v[22:23], v[2:3] op_sel:[0,0,1] op_sel_hi:[1,0,0]
	v_pk_add_f32 v[52:53], v[56:57], v[38:39] op_sel:[0,1] op_sel_hi:[1,0]
	v_pk_add_f32 v[38:39], v[40:41], v[38:39] op_sel:[0,1] op_sel_hi:[1,0] neg_lo:[0,1] neg_hi:[0,1]
	v_mov_b32_e32 v15, v3
	v_pk_mul_f32 v[2:3], v[10:11], v[6:7] op_sel:[0,1]
	v_mov_b32_e32 v57, v53
	v_mov_b32_e32 v53, v39
	v_pk_fma_f32 v[4:5], v[10:11], v[6:7], v[2:3] op_sel:[0,0,1] op_sel_hi:[1,1,0] neg_lo:[0,0,1] neg_hi:[0,0,1]
	v_pk_fma_f32 v[2:3], v[10:11], v[6:7], v[2:3] op_sel:[0,0,1] op_sel_hi:[1,0,0]
	v_pk_fma_f32 v[40:41], v[54:55], s[6:7], v[52:53] op_sel_hi:[1,0,1]
	v_pk_add_f32 v[44:45], v[58:59], v[44:45] neg_lo:[0,1] neg_hi:[0,1]
	v_pk_add_f32 v[52:53], v[76:77], v[62:63] neg_lo:[0,1] neg_hi:[0,1]
	v_pk_mul_f32 v[24:25], v[24:25], s[2:3] op_sel_hi:[1,0]
	v_mov_b32_e32 v2, v9
	v_pk_add_f32 v[44:45], v[44:45], v[52:53]
	v_pk_mul_f32 v[16:17], v[16:17], s[8:9] op_sel_hi:[1,0]
	v_pk_add_f32 v[52:53], v[18:19], v[24:25] op_sel:[0,1] op_sel_hi:[1,0] neg_lo:[0,1] neg_hi:[0,1]
	v_pk_add_f32 v[18:19], v[18:19], v[24:25] op_sel:[0,1] op_sel_hi:[1,0]
	v_mov_b32_e32 v5, v3
	v_pk_mul_f32 v[2:3], v[42:43], v[2:3] op_sel_hi:[1,0]
	v_pk_add_f32 v[18:19], v[18:19], v[16:17] op_sel:[0,1] op_sel_hi:[1,0] neg_lo:[0,1] neg_hi:[0,1]
	v_pk_add_f32 v[16:17], v[52:53], v[16:17] op_sel:[0,1] op_sel_hi:[1,0]
	v_pk_fma_f32 v[6:7], v[42:43], v[8:9], v[2:3] op_sel:[0,0,1] op_sel_hi:[1,1,0] neg_lo:[0,0,1] neg_hi:[0,0,1]
	v_pk_fma_f32 v[2:3], v[42:43], v[8:9], v[2:3] op_sel:[0,0,1] op_sel_hi:[1,0,0]
	v_mov_b32_e32 v24, v16
	v_mov_b32_e32 v25, v19
	;; [unrolled: 1-line block ×4, first 2 shown]
	v_pk_fma_f32 v[24:25], v[44:45], s[6:7], v[24:25] op_sel_hi:[1,0,1]
	v_pk_fma_f32 v[16:17], v[44:45], s[6:7], v[18:19] op_sel_hi:[1,0,1]
	v_pk_add_f32 v[8:9], v[14:15], v[4:5]
	v_pk_add_f32 v[10:11], v[12:13], v[6:7] neg_lo:[0,1] neg_hi:[0,1]
	ds_write2_b64 v60, v[24:25], v[16:17] offset0:10 offset1:15
	v_pk_fma_f32 v[8:9], v[8:9], 0.5, v[0:1] op_sel_hi:[1,0,1] neg_lo:[1,0,0] neg_hi:[1,0,0]
	v_pk_mul_f32 v[16:17], v[10:11], s[2:3] op_sel_hi:[1,0]
	v_pk_add_f32 v[18:19], v[14:15], v[4:5] neg_lo:[0,1] neg_hi:[0,1]
	v_pk_add_f32 v[22:23], v[12:13], v[14:15] neg_lo:[0,1] neg_hi:[0,1]
	;; [unrolled: 1-line block ×3, first 2 shown]
	v_pk_add_f32 v[2:3], v[0:1], v[12:13]
	v_pk_mul_f32 v[20:21], v[18:19], s[8:9] op_sel_hi:[1,0]
	v_pk_add_f32 v[22:23], v[22:23], v[24:25]
	v_pk_add_f32 v[24:25], v[8:9], v[16:17] op_sel:[0,1] op_sel_hi:[1,0]
	v_pk_add_f32 v[8:9], v[8:9], v[16:17] op_sel:[0,1] op_sel_hi:[1,0] neg_lo:[0,1] neg_hi:[0,1]
	v_pk_add_f32 v[2:3], v[2:3], v[14:15]
	v_pk_add_f32 v[8:9], v[8:9], v[20:21] op_sel:[0,1] op_sel_hi:[1,0] neg_lo:[0,1] neg_hi:[0,1]
	v_pk_add_f32 v[16:17], v[24:25], v[20:21] op_sel:[0,1] op_sel_hi:[1,0]
	v_pk_add_f32 v[2:3], v[2:3], v[4:5]
	v_mov_b32_e32 v20, v16
	v_mov_b32_e32 v21, v9
	v_pk_add_f32 v[2:3], v[2:3], v[6:7]
	v_pk_fma_f32 v[20:21], v[22:23], s[6:7], v[20:21] op_sel_hi:[1,0,1]
	ds_write2_b64 v26, v[2:3], v[20:21] offset1:5
	v_pk_add_f32 v[2:3], v[12:13], v[6:7]
	v_pk_add_f32 v[4:5], v[4:5], v[6:7] neg_lo:[0,1] neg_hi:[0,1]
	v_pk_fma_f32 v[0:1], v[2:3], 0.5, v[0:1] op_sel_hi:[1,0,1] neg_lo:[1,0,0] neg_hi:[1,0,0]
	v_pk_add_f32 v[2:3], v[14:15], v[12:13] neg_lo:[0,1] neg_hi:[0,1]
	v_pk_mul_f32 v[6:7], v[10:11], s[8:9] op_sel_hi:[1,0]
	v_pk_add_f32 v[2:3], v[2:3], v[4:5]
	v_pk_mul_f32 v[4:5], v[18:19], s[2:3] op_sel_hi:[1,0]
	v_pk_add_f32 v[32:33], v[32:33], v[70:71]
	v_pk_add_f32 v[10:11], v[0:1], v[4:5] op_sel:[0,1] op_sel_hi:[1,0] neg_lo:[0,1] neg_hi:[0,1]
	v_pk_add_f32 v[0:1], v[0:1], v[4:5] op_sel:[0,1] op_sel_hi:[1,0]
	v_pk_add_f32 v[4:5], v[10:11], v[6:7] op_sel:[0,1] op_sel_hi:[1,0]
	v_pk_add_f32 v[0:1], v[0:1], v[6:7] op_sel:[0,1] op_sel_hi:[1,0] neg_lo:[0,1] neg_hi:[0,1]
	v_pk_add_f32 v[32:33], v[32:33], v[72:73]
	v_mov_b32_e32 v6, v4
	v_mov_b32_e32 v7, v1
	;; [unrolled: 1-line block ×3, first 2 shown]
	v_pk_add_f32 v[32:33], v[32:33], v[66:67]
	v_mov_b32_e32 v56, v38
	v_pk_fma_f32 v[6:7], v[2:3], s[6:7], v[6:7] op_sel_hi:[1,0,1]
	v_pk_fma_f32 v[0:1], v[2:3], s[6:7], v[0:1] op_sel_hi:[1,0,1]
	v_mov_b32_e32 v9, v17
	v_pk_add_f32 v[32:33], v[32:33], v[68:69]
	v_pk_fma_f32 v[38:39], v[54:55], s[6:7], v[56:57] op_sel_hi:[1,0,1]
	ds_write2_b64 v26, v[6:7], v[0:1] offset0:10 offset1:15
	v_pk_fma_f32 v[0:1], v[22:23], s[6:7], v[8:9] op_sel_hi:[1,0,1]
	ds_write_b64 v26, v[0:1] offset:160
	s_and_saveexec_b64 s[2:3], vcc
	s_cbranch_execz .LBB0_23
; %bb.22:
	v_mul_lo_u16_e32 v0, 25, v48
	v_lshlrev_b32_e32 v1, 3, v49
	v_lshlrev_b32_e32 v0, 3, v0
	v_add3_u32 v0, 0, v1, v0
	ds_write2_b64 v0, v[32:33], v[36:37] offset1:5
	ds_write2_b64 v0, v[40:41], v[38:39] offset0:10 offset1:15
	ds_write_b64 v0, v[34:35] offset:160
.LBB0_23:
	s_or_b64 exec, exec, s[2:3]
	v_add_u32_e32 v8, 0x3000, v46
	s_waitcnt lgkmcnt(0)
	s_barrier
	v_add_u32_e32 v4, 0x1800, v46
	ds_read2_b64 v[24:27], v8 offset0:64 offset1:189
	v_add_u32_e32 v8, 0x1000, v46
	v_add_u32_e32 v0, 0x600, v46
	ds_read2_b64 v[20:23], v4 offset0:32 offset1:157
	v_add_u32_e32 v4, 0x2000, v46
	ds_read2_b64 v[12:15], v8 offset0:13 offset1:138
	v_add_u32_e32 v8, 0x2800, v46
	ds_read2_b64 v[16:19], v46 offset1:125
	ds_read2_b64 v[0:3], v0 offset0:58 offset1:208
	ds_read2_b64 v[4:7], v4 offset0:26 offset1:176
	;; [unrolled: 1-line block ×3, first 2 shown]
	ds_read_b64 v[42:43], v46 offset:14800
	s_and_saveexec_b64 s[2:3], vcc
	s_cbranch_execz .LBB0_25
; %bb.24:
	ds_read_b64 v[32:33], v46 offset:3000
	ds_read_b64 v[36:37], v46 offset:6200
	;; [unrolled: 1-line block ×5, first 2 shown]
.LBB0_25:
	s_or_b64 exec, exec, s[2:3]
	v_mov_b32_e32 v44, 41
	v_mul_lo_u16_sdwa v48, v47, v44 dst_sel:DWORD dst_unused:UNUSED_PAD src0_sel:BYTE_0 src1_sel:DWORD
	v_lshrrev_b16_e32 v48, 10, v48
	v_mul_lo_u16_e32 v49, 25, v48
	v_mov_b32_e32 v45, 5
	v_sub_u16_e32 v47, v47, v49
	v_mul_lo_u16_sdwa v44, v28, v44 dst_sel:DWORD dst_unused:UNUSED_PAD src0_sel:BYTE_0 src1_sel:DWORD
	v_lshlrev_b32_sdwa v49, v45, v47 dst_sel:DWORD dst_unused:UNUSED_PAD src0_sel:DWORD src1_sel:BYTE_0
	v_lshrrev_b16_e32 v44, 10, v44
	global_load_dwordx4 v[52:55], v49, s[4:5] offset:160
	global_load_dwordx4 v[56:59], v49, s[4:5] offset:176
	v_mul_lo_u16_e32 v49, 25, v44
	v_sub_u16_e32 v49, v28, v49
	v_lshlrev_b32_sdwa v45, v45, v49 dst_sel:DWORD dst_unused:UNUSED_PAD src0_sel:DWORD src1_sel:BYTE_0
	global_load_dwordx4 v[60:63], v45, s[4:5] offset:160
	global_load_dwordx4 v[64:67], v45, s[4:5] offset:176
	s_movk_i32 s3, 0x47af
	v_mul_u32_u24_sdwa v51, v50, s3 dst_sel:DWORD dst_unused:UNUSED_PAD src0_sel:WORD_0 src1_sel:DWORD
	v_sub_u16_sdwa v68, v50, v51 dst_sel:DWORD dst_unused:UNUSED_PAD src0_sel:DWORD src1_sel:WORD_1
	v_lshrrev_b16_e32 v68, 1, v68
	v_add_u16_sdwa v51, v68, v51 dst_sel:DWORD dst_unused:UNUSED_PAD src0_sel:DWORD src1_sel:WORD_1
	v_mov_b32_e32 v45, 3
	v_lshrrev_b16_e32 v84, 4, v51
	v_lshlrev_b32_sdwa v49, v45, v49 dst_sel:DWORD dst_unused:UNUSED_PAD src0_sel:DWORD src1_sel:BYTE_0
	v_lshlrev_b32_sdwa v45, v45, v47 dst_sel:DWORD dst_unused:UNUSED_PAD src0_sel:DWORD src1_sel:BYTE_0
	v_mul_lo_u16_e32 v47, 25, v84
	v_mul_u32_u24_e32 v44, 0x3e8, v44
	v_sub_u16_e32 v47, v50, v47
	v_mul_u32_u24_e32 v48, 0x3e8, v48
	v_add3_u32 v85, 0, v44, v49
	v_lshlrev_b32_e32 v44, 5, v47
	v_add3_u32 v86, 0, v48, v45
	global_load_dwordx4 v[48:51], v44, s[4:5] offset:176
	global_load_dwordx4 v[68:71], v44, s[4:5] offset:160
	s_mov_b32 s6, 0x3f737871
	s_mov_b32 s2, 0x3e9e377a
	s_waitcnt lgkmcnt(0)
	s_barrier
	s_waitcnt vmcnt(5)
	v_pk_mul_f32 v[44:45], v[52:53], v[12:13] op_sel:[0,1]
	v_pk_mul_f32 v[72:73], v[54:55], v[22:23] op_sel:[0,1]
	s_waitcnt vmcnt(4)
	v_pk_mul_f32 v[74:75], v[56:57], v[8:9] op_sel:[0,1]
	v_pk_mul_f32 v[76:77], v[58:59], v[26:27] op_sel:[0,1]
	;; [unrolled: 3-line block ×3, first 2 shown]
	v_pk_fma_f32 v[82:83], v[52:53], v[12:13], v[44:45] op_sel:[0,0,1] op_sel_hi:[1,1,0] neg_lo:[0,0,1] neg_hi:[0,0,1]
	v_pk_fma_f32 v[12:13], v[52:53], v[12:13], v[44:45] op_sel:[0,0,1] op_sel_hi:[1,0,0]
	v_pk_fma_f32 v[44:45], v[54:55], v[22:23], v[72:73] op_sel:[0,0,1] op_sel_hi:[1,1,0] neg_lo:[0,0,1] neg_hi:[0,0,1]
	v_pk_fma_f32 v[22:23], v[54:55], v[22:23], v[72:73] op_sel:[0,0,1] op_sel_hi:[1,0,0]
	;; [unrolled: 2-line block ×4, first 2 shown]
	s_waitcnt vmcnt(2)
	v_pk_mul_f32 v[56:57], v[66:67], v[24:25] op_sel:[0,1]
	v_pk_fma_f32 v[58:59], v[62:63], v[20:21], v[78:79] op_sel:[0,0,1] op_sel_hi:[1,1,0] neg_lo:[0,0,1] neg_hi:[0,0,1]
	v_pk_fma_f32 v[20:21], v[62:63], v[20:21], v[78:79] op_sel:[0,0,1] op_sel_hi:[1,0,0]
	v_pk_mul_f32 v[62:63], v[64:65], v[6:7] op_sel:[0,1]
	v_pk_fma_f32 v[72:73], v[60:61], v[2:3], v[80:81] op_sel:[0,0,1] op_sel_hi:[1,1,0] neg_lo:[0,0,1] neg_hi:[0,0,1]
	v_pk_fma_f32 v[2:3], v[60:61], v[2:3], v[80:81] op_sel:[0,0,1] op_sel_hi:[1,0,0]
	v_pk_fma_f32 v[60:61], v[66:67], v[24:25], v[56:57] op_sel:[0,0,1] op_sel_hi:[1,1,0] neg_lo:[0,0,1] neg_hi:[0,0,1]
	v_pk_fma_f32 v[24:25], v[66:67], v[24:25], v[56:57] op_sel:[0,0,1] op_sel_hi:[1,0,0]
	;; [unrolled: 2-line block ×3, first 2 shown]
	v_mov_b32_e32 v73, v3
	v_mov_b32_e32 v59, v21
	v_mov_b32_e32 v57, v7
	v_mov_b32_e32 v61, v25
	v_mov_b32_e32 v83, v13
	v_mov_b32_e32 v53, v9
	v_pk_add_f32 v[8:9], v[58:59], v[56:57]
	v_pk_add_f32 v[12:13], v[72:73], v[60:61] neg_lo:[0,1] neg_hi:[0,1]
	v_mov_b32_e32 v45, v23
	v_mov_b32_e32 v55, v27
	v_pk_add_f32 v[20:21], v[58:59], v[56:57] neg_lo:[0,1] neg_hi:[0,1]
	v_pk_add_f32 v[22:23], v[72:73], v[58:59] neg_lo:[0,1] neg_hi:[0,1]
	;; [unrolled: 1-line block ×3, first 2 shown]
	v_pk_fma_f32 v[8:9], v[8:9], 0.5, v[16:17] op_sel_hi:[1,0,1] neg_lo:[1,0,0] neg_hi:[1,0,0]
	v_pk_mul_f32 v[26:27], v[12:13], s[6:7] op_sel_hi:[1,0]
	v_pk_add_f32 v[6:7], v[16:17], v[72:73]
	v_pk_add_f32 v[22:23], v[22:23], v[24:25]
	v_pk_mul_f32 v[24:25], v[20:21], s[8:9] op_sel_hi:[1,0]
	v_pk_add_f32 v[62:63], v[8:9], v[26:27] op_sel:[0,1] op_sel_hi:[1,0]
	v_pk_add_f32 v[8:9], v[8:9], v[26:27] op_sel:[0,1] op_sel_hi:[1,0] neg_lo:[0,1] neg_hi:[0,1]
	v_pk_add_f32 v[6:7], v[6:7], v[58:59]
	v_pk_add_f32 v[8:9], v[8:9], v[24:25] op_sel:[0,1] op_sel_hi:[1,0] neg_lo:[0,1] neg_hi:[0,1]
	v_pk_add_f32 v[24:25], v[62:63], v[24:25] op_sel:[0,1] op_sel_hi:[1,0]
	v_pk_add_f32 v[6:7], v[6:7], v[56:57]
	v_mov_b32_e32 v26, v24
	v_mov_b32_e32 v27, v9
	v_pk_add_f32 v[6:7], v[6:7], v[60:61]
	v_pk_fma_f32 v[26:27], v[22:23], s[2:3], v[26:27] op_sel_hi:[1,0,1]
	ds_write2_b64 v85, v[6:7], v[26:27] offset1:25
	v_pk_add_f32 v[6:7], v[72:73], v[60:61]
	v_pk_add_f32 v[26:27], v[56:57], v[60:61] neg_lo:[0,1] neg_hi:[0,1]
	v_pk_fma_f32 v[6:7], v[6:7], 0.5, v[16:17] op_sel_hi:[1,0,1] neg_lo:[1,0,0] neg_hi:[1,0,0]
	v_pk_add_f32 v[16:17], v[58:59], v[72:73] neg_lo:[0,1] neg_hi:[0,1]
	v_pk_mul_f32 v[20:21], v[20:21], s[6:7] op_sel_hi:[1,0]
	v_pk_add_f32 v[16:17], v[16:17], v[26:27]
	v_pk_mul_f32 v[12:13], v[12:13], s[8:9] op_sel_hi:[1,0]
	v_pk_add_f32 v[26:27], v[6:7], v[20:21] op_sel:[0,1] op_sel_hi:[1,0] neg_lo:[0,1] neg_hi:[0,1]
	v_pk_add_f32 v[6:7], v[6:7], v[20:21] op_sel:[0,1] op_sel_hi:[1,0]
	v_mov_b32_e32 v9, v25
	v_pk_add_f32 v[6:7], v[6:7], v[12:13] op_sel:[0,1] op_sel_hi:[1,0] neg_lo:[0,1] neg_hi:[0,1]
	v_pk_add_f32 v[12:13], v[26:27], v[12:13] op_sel:[0,1] op_sel_hi:[1,0]
	v_mov_b32_e32 v21, v7
	v_mov_b32_e32 v20, v12
	;; [unrolled: 1-line block ×3, first 2 shown]
	v_pk_fma_f32 v[20:21], v[16:17], s[2:3], v[20:21] op_sel_hi:[1,0,1]
	v_pk_fma_f32 v[6:7], v[16:17], s[2:3], v[6:7] op_sel_hi:[1,0,1]
	ds_write2_b64 v85, v[20:21], v[6:7] offset0:50 offset1:75
	v_pk_fma_f32 v[6:7], v[22:23], s[2:3], v[8:9] op_sel_hi:[1,0,1]
	ds_write_b64 v85, v[6:7] offset:800
	v_pk_add_f32 v[6:7], v[44:45], v[52:53]
	v_pk_add_f32 v[8:9], v[82:83], v[54:55] neg_lo:[0,1] neg_hi:[0,1]
	v_pk_fma_f32 v[6:7], v[6:7], 0.5, v[18:19] op_sel_hi:[1,0,1] neg_lo:[1,0,0] neg_hi:[1,0,0]
	v_pk_mul_f32 v[12:13], v[8:9], s[6:7] op_sel_hi:[1,0]
	v_pk_add_f32 v[16:17], v[44:45], v[52:53] neg_lo:[0,1] neg_hi:[0,1]
	v_pk_add_f32 v[22:23], v[82:83], v[44:45] neg_lo:[0,1] neg_hi:[0,1]
	;; [unrolled: 1-line block ×3, first 2 shown]
	v_pk_add_f32 v[2:3], v[18:19], v[82:83]
	v_pk_mul_f32 v[20:21], v[16:17], s[8:9] op_sel_hi:[1,0]
	v_pk_add_f32 v[22:23], v[22:23], v[24:25]
	v_pk_add_f32 v[24:25], v[6:7], v[12:13] op_sel:[0,1] op_sel_hi:[1,0]
	v_pk_add_f32 v[6:7], v[6:7], v[12:13] op_sel:[0,1] op_sel_hi:[1,0] neg_lo:[0,1] neg_hi:[0,1]
	v_pk_add_f32 v[2:3], v[2:3], v[44:45]
	v_pk_add_f32 v[6:7], v[6:7], v[20:21] op_sel:[0,1] op_sel_hi:[1,0] neg_lo:[0,1] neg_hi:[0,1]
	v_pk_add_f32 v[12:13], v[24:25], v[20:21] op_sel:[0,1] op_sel_hi:[1,0]
	v_pk_add_f32 v[2:3], v[2:3], v[52:53]
	v_mov_b32_e32 v20, v12
	v_mov_b32_e32 v21, v7
	v_pk_add_f32 v[2:3], v[2:3], v[54:55]
	v_pk_fma_f32 v[20:21], v[22:23], s[2:3], v[20:21] op_sel_hi:[1,0,1]
	ds_write2_b64 v86, v[2:3], v[20:21] offset1:25
	v_pk_add_f32 v[2:3], v[82:83], v[54:55]
	v_pk_add_f32 v[20:21], v[52:53], v[54:55] neg_lo:[0,1] neg_hi:[0,1]
	v_pk_fma_f32 v[2:3], v[2:3], 0.5, v[18:19] op_sel_hi:[1,0,1] neg_lo:[1,0,0] neg_hi:[1,0,0]
	v_pk_add_f32 v[18:19], v[44:45], v[82:83] neg_lo:[0,1] neg_hi:[0,1]
	v_pk_mul_f32 v[16:17], v[16:17], s[6:7] op_sel_hi:[1,0]
	v_pk_add_f32 v[18:19], v[18:19], v[20:21]
	v_pk_mul_f32 v[8:9], v[8:9], s[8:9] op_sel_hi:[1,0]
	v_pk_add_f32 v[20:21], v[2:3], v[16:17] op_sel:[0,1] op_sel_hi:[1,0] neg_lo:[0,1] neg_hi:[0,1]
	v_pk_add_f32 v[2:3], v[2:3], v[16:17] op_sel:[0,1] op_sel_hi:[1,0]
	v_mov_b32_e32 v7, v13
	v_pk_add_f32 v[2:3], v[2:3], v[8:9] op_sel:[0,1] op_sel_hi:[1,0] neg_lo:[0,1] neg_hi:[0,1]
	v_pk_add_f32 v[8:9], v[20:21], v[8:9] op_sel:[0,1] op_sel_hi:[1,0]
	v_mov_b32_e32 v17, v3
	v_mov_b32_e32 v16, v8
	;; [unrolled: 1-line block ×3, first 2 shown]
	v_pk_fma_f32 v[16:17], v[18:19], s[2:3], v[16:17] op_sel_hi:[1,0,1]
	v_pk_fma_f32 v[2:3], v[18:19], s[2:3], v[2:3] op_sel_hi:[1,0,1]
	ds_write2_b64 v86, v[16:17], v[2:3] offset0:50 offset1:75
	v_pk_fma_f32 v[2:3], v[22:23], s[2:3], v[6:7] op_sel_hi:[1,0,1]
	ds_write_b64 v86, v[2:3] offset:800
	v_mul_u32_u24_e32 v2, 0x3e8, v84
	v_lshlrev_b32_e32 v3, 3, v47
	v_add3_u32 v26, 0, v2, v3
	s_waitcnt vmcnt(0)
	v_pk_mul_f32 v[2:3], v[14:15], v[68:69] op_sel:[0,1]
	s_nop 0
	v_pk_fma_f32 v[6:7], v[14:15], v[68:69], v[2:3] op_sel:[0,0,1] op_sel_hi:[1,1,0] neg_lo:[0,0,1] neg_hi:[0,0,1]
	v_pk_fma_f32 v[2:3], v[14:15], v[68:69], v[2:3] op_sel:[0,0,1] op_sel_hi:[1,0,0]
	s_nop 0
	v_mov_b32_e32 v2, v71
	v_mov_b32_e32 v7, v3
	v_pk_mul_f32 v[2:3], v[4:5], v[2:3] op_sel_hi:[1,0]
	s_nop 0
	v_pk_fma_f32 v[8:9], v[4:5], v[70:71], v[2:3] op_sel:[0,0,1] op_sel_hi:[1,1,0] neg_lo:[0,0,1] neg_hi:[0,0,1]
	v_pk_fma_f32 v[2:3], v[4:5], v[70:71], v[2:3] op_sel:[0,0,1] op_sel_hi:[1,0,0]
	s_nop 0
	v_mov_b32_e32 v9, v3
	v_pk_mul_f32 v[2:3], v[10:11], v[48:49] op_sel:[0,1]
	v_pk_add_f32 v[22:23], v[6:7], v[8:9] neg_lo:[0,1] neg_hi:[0,1]
	v_pk_fma_f32 v[4:5], v[10:11], v[48:49], v[2:3] op_sel:[0,0,1] op_sel_hi:[1,1,0] neg_lo:[0,0,1] neg_hi:[0,0,1]
	v_pk_fma_f32 v[2:3], v[10:11], v[48:49], v[2:3] op_sel:[0,0,1] op_sel_hi:[1,0,0]
	s_nop 0
	v_mov_b32_e32 v2, v51
	v_mov_b32_e32 v5, v3
	v_pk_mul_f32 v[2:3], v[42:43], v[2:3] op_sel_hi:[1,0]
	v_pk_add_f32 v[12:13], v[8:9], v[4:5]
	v_pk_fma_f32 v[10:11], v[42:43], v[50:51], v[2:3] op_sel:[0,0,1] op_sel_hi:[1,1,0] neg_lo:[0,0,1] neg_hi:[0,0,1]
	v_pk_fma_f32 v[2:3], v[42:43], v[50:51], v[2:3] op_sel:[0,0,1] op_sel_hi:[1,0,0]
	v_pk_fma_f32 v[12:13], v[12:13], 0.5, v[0:1] op_sel_hi:[1,0,1] neg_lo:[1,0,0] neg_hi:[1,0,0]
	v_mov_b32_e32 v11, v3
	v_pk_add_f32 v[14:15], v[6:7], v[10:11] neg_lo:[0,1] neg_hi:[0,1]
	v_pk_add_f32 v[18:19], v[8:9], v[4:5] neg_lo:[0,1] neg_hi:[0,1]
	v_pk_mul_f32 v[16:17], v[14:15], s[6:7] op_sel_hi:[1,0]
	v_pk_add_f32 v[24:25], v[10:11], v[4:5] neg_lo:[0,1] neg_hi:[0,1]
	v_pk_add_f32 v[2:3], v[0:1], v[6:7]
	v_pk_mul_f32 v[20:21], v[18:19], s[8:9] op_sel_hi:[1,0]
	v_pk_add_f32 v[22:23], v[22:23], v[24:25]
	v_pk_add_f32 v[24:25], v[12:13], v[16:17] op_sel:[0,1] op_sel_hi:[1,0]
	v_pk_add_f32 v[12:13], v[12:13], v[16:17] op_sel:[0,1] op_sel_hi:[1,0] neg_lo:[0,1] neg_hi:[0,1]
	v_pk_add_f32 v[2:3], v[2:3], v[8:9]
	v_pk_add_f32 v[12:13], v[12:13], v[20:21] op_sel:[0,1] op_sel_hi:[1,0] neg_lo:[0,1] neg_hi:[0,1]
	v_pk_add_f32 v[16:17], v[24:25], v[20:21] op_sel:[0,1] op_sel_hi:[1,0]
	v_pk_add_f32 v[2:3], v[2:3], v[4:5]
	v_mov_b32_e32 v20, v16
	v_mov_b32_e32 v21, v13
	v_pk_add_f32 v[2:3], v[2:3], v[10:11]
	v_pk_fma_f32 v[20:21], v[22:23], s[2:3], v[20:21] op_sel_hi:[1,0,1]
	ds_write2_b64 v26, v[2:3], v[20:21] offset1:25
	v_pk_add_f32 v[2:3], v[6:7], v[10:11]
	v_pk_add_f32 v[4:5], v[4:5], v[10:11] neg_lo:[0,1] neg_hi:[0,1]
	v_pk_fma_f32 v[0:1], v[2:3], 0.5, v[0:1] op_sel_hi:[1,0,1] neg_lo:[1,0,0] neg_hi:[1,0,0]
	v_pk_add_f32 v[2:3], v[8:9], v[6:7] neg_lo:[0,1] neg_hi:[0,1]
	v_pk_mul_f32 v[6:7], v[14:15], s[8:9] op_sel_hi:[1,0]
	v_pk_add_f32 v[2:3], v[2:3], v[4:5]
	v_pk_mul_f32 v[4:5], v[18:19], s[6:7] op_sel_hi:[1,0]
	v_mov_b32_e32 v13, v17
	v_pk_add_f32 v[8:9], v[0:1], v[4:5] op_sel:[0,1] op_sel_hi:[1,0] neg_lo:[0,1] neg_hi:[0,1]
	v_pk_add_f32 v[0:1], v[0:1], v[4:5] op_sel:[0,1] op_sel_hi:[1,0]
	v_pk_add_f32 v[4:5], v[8:9], v[6:7] op_sel:[0,1] op_sel_hi:[1,0]
	v_pk_add_f32 v[0:1], v[0:1], v[6:7] op_sel:[0,1] op_sel_hi:[1,0] neg_lo:[0,1] neg_hi:[0,1]
	v_mov_b32_e32 v6, v4
	v_mov_b32_e32 v7, v1
	;; [unrolled: 1-line block ×3, first 2 shown]
	v_pk_fma_f32 v[6:7], v[2:3], s[2:3], v[6:7] op_sel_hi:[1,0,1]
	v_pk_fma_f32 v[0:1], v[2:3], s[2:3], v[0:1] op_sel_hi:[1,0,1]
	ds_write2_b64 v26, v[6:7], v[0:1] offset0:50 offset1:75
	v_pk_fma_f32 v[0:1], v[22:23], s[2:3], v[12:13] op_sel_hi:[1,0,1]
	ds_write_b64 v26, v[0:1] offset:800
	s_and_saveexec_b64 s[10:11], vcc
	s_cbranch_execz .LBB0_27
; %bb.26:
	v_mul_u32_u24_sdwa v0, v29, s3 dst_sel:DWORD dst_unused:UNUSED_PAD src0_sel:WORD_0 src1_sel:DWORD
	v_sub_u16_sdwa v1, v29, v0 dst_sel:DWORD dst_unused:UNUSED_PAD src0_sel:DWORD src1_sel:WORD_1
	v_lshrrev_b16_e32 v1, 1, v1
	v_add_u16_sdwa v0, v1, v0 dst_sel:DWORD dst_unused:UNUSED_PAD src0_sel:DWORD src1_sel:WORD_1
	v_lshrrev_b16_e32 v0, 4, v0
	v_mul_lo_u16_e32 v0, 25, v0
	v_sub_u16_e32 v8, v29, v0
	v_lshlrev_b32_e32 v9, 5, v8
	global_load_dwordx4 v[0:3], v9, s[4:5] offset:160
	global_load_dwordx4 v[4:7], v9, s[4:5] offset:176
	v_lshl_add_u32 v26, v8, 3, 0
	v_add_u32_e32 v27, 0x3800, v26
	s_waitcnt vmcnt(1)
	v_pk_mul_f32 v[8:9], v[40:41], v[2:3] op_sel:[1,0]
	v_pk_mul_f32 v[10:11], v[36:37], v[0:1] op_sel:[1,0]
	s_waitcnt vmcnt(0)
	v_pk_mul_f32 v[12:13], v[38:39], v[4:5] op_sel:[1,0]
	v_pk_mul_f32 v[14:15], v[34:35], v[6:7] op_sel:[1,0]
	v_pk_fma_f32 v[16:17], v[36:37], v[0:1], v[10:11] op_sel:[0,0,1] op_sel_hi:[1,1,0] neg_lo:[0,0,1] neg_hi:[0,0,1]
	v_pk_fma_f32 v[0:1], v[36:37], v[0:1], v[10:11] op_sel:[0,0,1] op_sel_hi:[0,1,0]
	v_pk_fma_f32 v[10:11], v[40:41], v[2:3], v[8:9] op_sel:[0,0,1] op_sel_hi:[1,1,0] neg_lo:[0,0,1] neg_hi:[0,0,1]
	v_pk_fma_f32 v[2:3], v[40:41], v[2:3], v[8:9] op_sel:[0,0,1] op_sel_hi:[0,1,0]
	;; [unrolled: 2-line block ×4, first 2 shown]
	v_mov_b32_e32 v17, v1
	v_mov_b32_e32 v11, v3
	;; [unrolled: 1-line block ×4, first 2 shown]
	v_pk_add_f32 v[0:1], v[32:33], v[16:17]
	v_pk_add_f32 v[2:3], v[16:17], v[8:9] neg_lo:[0,1] neg_hi:[0,1]
	v_pk_add_f32 v[6:7], v[10:11], v[14:15]
	v_pk_add_f32 v[4:5], v[10:11], v[14:15] neg_lo:[0,1] neg_hi:[0,1]
	v_pk_add_f32 v[12:13], v[16:17], v[10:11] neg_lo:[0,1] neg_hi:[0,1]
	;; [unrolled: 1-line block ×3, first 2 shown]
	v_pk_add_f32 v[16:17], v[16:17], v[8:9]
	v_pk_add_f32 v[0:1], v[0:1], v[10:11]
	v_pk_fma_f32 v[6:7], v[6:7], 0.5, v[32:33] op_sel_hi:[1,0,1] neg_lo:[1,0,0] neg_hi:[1,0,0]
	v_pk_mul_f32 v[10:11], v[2:3], s[6:7] op_sel_hi:[1,0]
	v_pk_add_f32 v[18:19], v[8:9], v[14:15] neg_lo:[0,1] neg_hi:[0,1]
	v_pk_add_f32 v[22:23], v[14:15], v[8:9] neg_lo:[0,1] neg_hi:[0,1]
	v_pk_mul_f32 v[24:25], v[4:5], s[8:9] op_sel_hi:[1,0]
	v_pk_fma_f32 v[16:17], v[16:17], 0.5, v[32:33] op_sel_hi:[1,0,1] neg_lo:[1,0,0] neg_hi:[1,0,0]
	v_pk_mul_f32 v[4:5], v[4:5], s[6:7] op_sel_hi:[1,0]
	v_pk_add_f32 v[0:1], v[0:1], v[14:15]
	v_pk_add_f32 v[14:15], v[6:7], v[10:11] op_sel:[0,1] op_sel_hi:[1,0]
	v_pk_add_f32 v[6:7], v[6:7], v[10:11] op_sel:[0,1] op_sel_hi:[1,0] neg_lo:[0,1] neg_hi:[0,1]
	v_pk_mul_f32 v[2:3], v[2:3], s[8:9] op_sel_hi:[1,0]
	v_pk_add_f32 v[10:11], v[16:17], v[4:5] op_sel:[0,1] op_sel_hi:[1,0] neg_lo:[0,1] neg_hi:[0,1]
	v_pk_add_f32 v[4:5], v[16:17], v[4:5] op_sel:[0,1] op_sel_hi:[1,0]
	v_pk_add_f32 v[0:1], v[0:1], v[8:9]
	v_pk_add_f32 v[6:7], v[6:7], v[24:25] op_sel:[0,1] op_sel_hi:[1,0] neg_lo:[0,1] neg_hi:[0,1]
	v_pk_add_f32 v[8:9], v[14:15], v[24:25] op_sel:[0,1] op_sel_hi:[1,0]
	v_pk_add_f32 v[12:13], v[12:13], v[18:19]
	v_pk_add_f32 v[4:5], v[4:5], v[2:3] op_sel:[0,1] op_sel_hi:[1,0] neg_lo:[0,1] neg_hi:[0,1]
	v_pk_add_f32 v[2:3], v[10:11], v[2:3] op_sel:[0,1] op_sel_hi:[1,0]
	v_mov_b32_e32 v10, v8
	v_mov_b32_e32 v11, v7
	v_pk_add_f32 v[18:19], v[20:21], v[22:23]
	v_mov_b32_e32 v14, v2
	v_mov_b32_e32 v15, v5
	;; [unrolled: 1-line block ×4, first 2 shown]
	v_pk_fma_f32 v[2:3], v[12:13], s[2:3], v[10:11] op_sel_hi:[1,0,1]
	v_pk_fma_f32 v[8:9], v[18:19], s[2:3], v[14:15] op_sel_hi:[1,0,1]
	;; [unrolled: 1-line block ×4, first 2 shown]
	ds_write2_b64 v27, v[0:1], v[2:3] offset0:83 offset1:108
	ds_write2_b64 v27, v[8:9], v[4:5] offset0:133 offset1:158
	ds_write_b64 v26, v[6:7] offset:15800
.LBB0_27:
	s_or_b64 exec, exec, s[10:11]
	v_mul_u32_u24_e32 v0, 15, v28
	v_lshlrev_b32_e32 v29, 3, v0
	s_waitcnt lgkmcnt(0)
	s_barrier
	global_load_dwordx4 v[0:3], v29, s[4:5] offset:960
	global_load_dwordx4 v[4:7], v29, s[4:5] offset:976
	;; [unrolled: 1-line block ×7, first 2 shown]
	global_load_dwordx2 v[44:45], v29, s[4:5] offset:1072
	ds_read2_b64 v[32:35], v46 offset1:125
	v_add_u32_e32 v29, 0x400, v46
	v_add_u32_e32 v47, 0xc00, v46
	;; [unrolled: 1-line block ×7, first 2 shown]
	ds_read2_b64 v[36:39], v29 offset0:122 offset1:247
	ds_read2_b64 v[40:43], v47 offset0:116 offset1:241
	;; [unrolled: 1-line block ×7, first 2 shown]
	s_mov_b32 s2, 0x3f3504f3
	s_mov_b32 s4, 0x3f6c835e
	s_mov_b32 s6, 0x3ec3ef15
	s_waitcnt lgkmcnt(0)
	s_barrier
	s_waitcnt vmcnt(7)
	v_pk_mul_f32 v[68:69], v[0:1], v[34:35] op_sel:[0,1]
	v_pk_mul_f32 v[70:71], v[2:3], v[36:37] op_sel:[0,1]
	s_waitcnt vmcnt(6)
	v_pk_mul_f32 v[72:73], v[4:5], v[38:39] op_sel:[0,1]
	s_waitcnt vmcnt(5)
	v_pk_mul_f32 v[76:77], v[42:43], v[8:9] op_sel:[0,1]
	v_mov_b32_e32 v78, v11
	s_waitcnt vmcnt(4)
	v_pk_mul_f32 v[80:81], v[50:51], v[12:13] op_sel:[0,1]
	v_mov_b32_e32 v82, v15
	v_pk_fma_f32 v[84:85], v[0:1], v[34:35], v[68:69] op_sel:[0,0,1] op_sel_hi:[1,1,0] neg_lo:[0,0,1] neg_hi:[0,0,1]
	v_pk_fma_f32 v[0:1], v[0:1], v[34:35], v[68:69] op_sel:[0,0,1] op_sel_hi:[1,0,0]
	v_pk_fma_f32 v[34:35], v[2:3], v[36:37], v[70:71] op_sel:[0,0,1] op_sel_hi:[1,1,0] neg_lo:[0,0,1] neg_hi:[0,0,1]
	v_pk_fma_f32 v[2:3], v[2:3], v[36:37], v[70:71] op_sel:[0,0,1] op_sel_hi:[1,0,0]
	;; [unrolled: 2-line block ×4, first 2 shown]
	v_pk_mul_f32 v[42:43], v[48:49], v[78:79] op_sel_hi:[1,0]
	v_pk_mul_f32 v[74:75], v[6:7], v[40:41] op_sel:[0,1]
	s_waitcnt vmcnt(3)
	v_pk_mul_f32 v[36:37], v[54:55], v[16:17] op_sel:[0,1]
	v_pk_fma_f32 v[72:73], v[48:49], v[10:11], v[42:43] op_sel:[0,0,1] op_sel_hi:[1,1,0] neg_lo:[0,0,1] neg_hi:[0,0,1]
	v_pk_fma_f32 v[10:11], v[48:49], v[10:11], v[42:43] op_sel:[0,0,1] op_sel_hi:[1,0,0]
	s_waitcnt vmcnt(1)
	v_pk_mul_f32 v[42:43], v[62:63], v[24:25] op_sel:[0,1]
	v_pk_fma_f32 v[48:49], v[50:51], v[12:13], v[80:81] op_sel:[0,0,1] op_sel_hi:[1,1,0] neg_lo:[0,0,1] neg_hi:[0,0,1]
	v_pk_fma_f32 v[12:13], v[50:51], v[12:13], v[80:81] op_sel:[0,0,1] op_sel_hi:[1,0,0]
	v_mov_b32_e32 v4, v27
	v_pk_mul_f32 v[50:51], v[52:53], v[82:83] op_sel_hi:[1,0]
	v_mov_b32_e32 v0, v19
	v_pk_fma_f32 v[38:39], v[6:7], v[40:41], v[74:75] op_sel:[0,0,1] op_sel_hi:[1,1,0] neg_lo:[0,0,1] neg_hi:[0,0,1]
	v_pk_fma_f32 v[6:7], v[6:7], v[40:41], v[74:75] op_sel:[0,0,1] op_sel_hi:[1,0,0]
	v_pk_mul_f32 v[40:41], v[58:59], v[20:21] op_sel:[0,1]
	v_mov_b32_e32 v2, v23
	v_pk_fma_f32 v[74:75], v[52:53], v[14:15], v[50:51] op_sel:[0,0,1] op_sel_hi:[1,1,0] neg_lo:[0,0,1] neg_hi:[0,0,1]
	v_pk_fma_f32 v[14:15], v[52:53], v[14:15], v[50:51] op_sel:[0,0,1] op_sel_hi:[1,0,0]
	v_pk_fma_f32 v[50:51], v[54:55], v[16:17], v[36:37] op_sel:[0,0,1] op_sel_hi:[1,1,0] neg_lo:[0,0,1] neg_hi:[0,0,1]
	v_pk_fma_f32 v[16:17], v[54:55], v[16:17], v[36:37] op_sel:[0,0,1] op_sel_hi:[1,0,0]
	v_pk_fma_f32 v[54:55], v[62:63], v[24:25], v[42:43] op_sel:[0,0,1] op_sel_hi:[1,1,0] neg_lo:[0,0,1] neg_hi:[0,0,1]
	v_pk_fma_f32 v[24:25], v[62:63], v[24:25], v[42:43] op_sel:[0,0,1] op_sel_hi:[1,0,0]
	v_pk_mul_f32 v[42:43], v[64:65], v[4:5] op_sel_hi:[1,0]
	v_pk_mul_f32 v[36:37], v[56:57], v[0:1] op_sel_hi:[1,0]
	v_pk_fma_f32 v[52:53], v[58:59], v[20:21], v[40:41] op_sel:[0,0,1] op_sel_hi:[1,1,0] neg_lo:[0,0,1] neg_hi:[0,0,1]
	v_pk_fma_f32 v[20:21], v[58:59], v[20:21], v[40:41] op_sel:[0,0,1] op_sel_hi:[1,0,0]
	v_pk_mul_f32 v[40:41], v[60:61], v[2:3] op_sel_hi:[1,0]
	v_mov_b32_e32 v85, v1
	v_mov_b32_e32 v35, v3
	v_pk_fma_f32 v[0:1], v[64:65], v[26:27], v[42:43] op_sel:[0,0,1] op_sel_hi:[1,1,0] neg_lo:[0,0,1] neg_hi:[0,0,1]
	v_pk_fma_f32 v[2:3], v[64:65], v[26:27], v[42:43] op_sel:[0,0,1] op_sel_hi:[1,0,0]
	v_pk_fma_f32 v[58:59], v[56:57], v[18:19], v[36:37] op_sel:[0,0,1] op_sel_hi:[1,1,0] neg_lo:[0,0,1] neg_hi:[0,0,1]
	v_pk_fma_f32 v[18:19], v[56:57], v[18:19], v[36:37] op_sel:[0,0,1] op_sel_hi:[1,0,0]
	;; [unrolled: 2-line block ×3, first 2 shown]
	v_mov_b32_e32 v1, v3
	s_waitcnt vmcnt(0)
	v_pk_mul_f32 v[2:3], v[66:67], v[44:45] op_sel:[0,1]
	v_mov_b32_e32 v69, v5
	v_mov_b32_e32 v39, v7
	;; [unrolled: 1-line block ×4, first 2 shown]
	v_pk_fma_f32 v[4:5], v[66:67], v[44:45], v[2:3] op_sel:[0,0,1] op_sel_hi:[1,1,0] neg_lo:[0,0,1] neg_hi:[0,0,1]
	v_pk_fma_f32 v[2:3], v[66:67], v[44:45], v[2:3] op_sel:[0,0,1] op_sel_hi:[1,0,0]
	v_mov_b32_e32 v71, v9
	v_mov_b32_e32 v73, v11
	;; [unrolled: 1-line block ×4, first 2 shown]
	v_pk_add_f32 v[2:3], v[32:33], v[74:75] neg_lo:[0,1] neg_hi:[0,1]
	v_pk_add_f32 v[8:9], v[38:39], v[36:37] neg_lo:[0,1] neg_hi:[0,1]
	v_mov_b32_e32 v49, v13
	v_pk_fma_f32 v[10:11], v[38:39], 2.0, v[8:9] op_sel_hi:[1,0,1] neg_lo:[0,0,1] neg_hi:[0,0,1]
	v_pk_add_f32 v[12:13], v[34:35], v[58:59] neg_lo:[0,1] neg_hi:[0,1]
	v_pk_add_f32 v[0:1], v[72:73], v[0:1] neg_lo:[0,1] neg_hi:[0,1]
	v_pk_add_f32 v[36:37], v[2:3], v[8:9] op_sel:[0,1] op_sel_hi:[1,0] neg_lo:[0,1] neg_hi:[0,1]
	v_pk_add_f32 v[8:9], v[2:3], v[8:9] op_sel:[0,1] op_sel_hi:[1,0]
	v_mov_b32_e32 v51, v17
	v_mov_b32_e32 v55, v25
	v_pk_fma_f32 v[16:17], v[72:73], 2.0, v[0:1] op_sel_hi:[1,0,1] neg_lo:[0,0,1] neg_hi:[0,0,1]
	v_mov_b32_e32 v37, v9
	v_pk_add_f32 v[8:9], v[12:13], v[0:1] op_sel:[0,1] op_sel_hi:[1,0] neg_lo:[0,1] neg_hi:[0,1]
	v_pk_add_f32 v[0:1], v[12:13], v[0:1] op_sel:[0,1] op_sel_hi:[1,0]
	v_mov_b32_e32 v53, v21
	v_pk_add_f32 v[18:19], v[84:85], v[50:51] neg_lo:[0,1] neg_hi:[0,1]
	v_pk_add_f32 v[22:23], v[70:71], v[54:55] neg_lo:[0,1] neg_hi:[0,1]
	v_mov_b32_e32 v9, v1
	v_pk_fma_f32 v[14:15], v[34:35], 2.0, v[12:13] op_sel_hi:[1,0,1] neg_lo:[0,0,1] neg_hi:[0,0,1]
	v_pk_fma_f32 v[24:25], v[70:71], 2.0, v[22:23] op_sel_hi:[1,0,1] neg_lo:[0,0,1] neg_hi:[0,0,1]
	v_pk_add_f32 v[26:27], v[68:69], v[52:53] neg_lo:[0,1] neg_hi:[0,1]
	v_pk_add_f32 v[4:5], v[48:49], v[4:5] neg_lo:[0,1] neg_hi:[0,1]
	v_pk_fma_f32 v[0:1], v[12:13], 2.0, v[8:9] op_sel_hi:[1,0,1] neg_lo:[0,0,1] neg_hi:[0,0,1]
	v_pk_add_f32 v[12:13], v[18:19], v[22:23] op_sel:[0,1] op_sel_hi:[1,0] neg_lo:[0,1] neg_hi:[0,1]
	v_pk_add_f32 v[22:23], v[18:19], v[22:23] op_sel:[0,1] op_sel_hi:[1,0]
	v_pk_fma_f32 v[34:35], v[48:49], 2.0, v[4:5] op_sel_hi:[1,0,1] neg_lo:[0,0,1] neg_hi:[0,0,1]
	v_mov_b32_e32 v13, v23
	v_pk_add_f32 v[22:23], v[26:27], v[4:5] op_sel:[0,1] op_sel_hi:[1,0] neg_lo:[0,1] neg_hi:[0,1]
	v_pk_add_f32 v[4:5], v[26:27], v[4:5] op_sel:[0,1] op_sel_hi:[1,0]
	v_pk_fma_f32 v[6:7], v[32:33], 2.0, v[2:3] op_sel_hi:[1,0,1] neg_lo:[0,0,1] neg_hi:[0,0,1]
	v_pk_fma_f32 v[2:3], v[2:3], 2.0, v[36:37] op_sel_hi:[1,0,1] neg_lo:[0,0,1] neg_hi:[0,0,1]
	v_mov_b32_e32 v23, v5
	v_pk_fma_f32 v[20:21], v[84:85], 2.0, v[18:19] op_sel_hi:[1,0,1] neg_lo:[0,0,1] neg_hi:[0,0,1]
	v_pk_fma_f32 v[32:33], v[68:69], 2.0, v[26:27] op_sel_hi:[1,0,1] neg_lo:[0,0,1] neg_hi:[0,0,1]
	;; [unrolled: 1-line block ×4, first 2 shown]
	v_pk_mul_f32 v[26:27], v[0:1], s[2:3] op_sel_hi:[1,0]
	v_pk_fma_f32 v[0:1], v[0:1], s[2:3], v[2:3] op_sel_hi:[1,0,1] neg_lo:[1,0,0] neg_hi:[1,0,0]
	v_pk_add_f32 v[10:11], v[6:7], v[10:11] neg_lo:[0,1] neg_hi:[0,1]
	v_pk_add_f32 v[38:39], v[0:1], v[26:27] op_sel:[0,1] op_sel_hi:[1,0] neg_lo:[0,1] neg_hi:[0,1]
	v_pk_add_f32 v[0:1], v[0:1], v[26:27] op_sel:[0,1] op_sel_hi:[1,0]
	v_pk_mul_f32 v[26:27], v[4:5], s[2:3] op_sel_hi:[1,0]
	v_pk_fma_f32 v[4:5], v[4:5], s[2:3], v[18:19] op_sel_hi:[1,0,1] neg_lo:[1,0,0] neg_hi:[1,0,0]
	v_pk_add_f32 v[16:17], v[14:15], v[16:17] neg_lo:[0,1] neg_hi:[0,1]
	v_pk_add_f32 v[40:41], v[4:5], v[26:27] op_sel:[0,1] op_sel_hi:[1,0] neg_lo:[0,1] neg_hi:[0,1]
	v_pk_add_f32 v[4:5], v[4:5], v[26:27] op_sel:[0,1] op_sel_hi:[1,0]
	v_pk_add_f32 v[24:25], v[20:21], v[24:25] neg_lo:[0,1] neg_hi:[0,1]
	v_pk_add_f32 v[34:35], v[32:33], v[34:35] neg_lo:[0,1] neg_hi:[0,1]
	v_mov_b32_e32 v39, v1
	v_mov_b32_e32 v41, v5
	v_pk_fma_f32 v[6:7], v[6:7], 2.0, v[10:11] op_sel_hi:[1,0,1] neg_lo:[0,0,1] neg_hi:[0,0,1]
	v_pk_fma_f32 v[14:15], v[14:15], 2.0, v[16:17] op_sel_hi:[1,0,1] neg_lo:[0,0,1] neg_hi:[0,0,1]
	v_pk_fma_f32 v[20:21], v[20:21], 2.0, v[24:25] op_sel_hi:[1,0,1] neg_lo:[0,0,1] neg_hi:[0,0,1]
	v_pk_fma_f32 v[32:33], v[32:33], 2.0, v[34:35] op_sel_hi:[1,0,1] neg_lo:[0,0,1] neg_hi:[0,0,1]
	v_pk_fma_f32 v[2:3], v[2:3], 2.0, v[38:39] op_sel_hi:[1,0,1] neg_lo:[0,0,1] neg_hi:[0,0,1]
	v_pk_fma_f32 v[18:19], v[18:19], 2.0, v[40:41] op_sel_hi:[1,0,1] neg_lo:[0,0,1] neg_hi:[0,0,1]
	v_pk_add_f32 v[14:15], v[6:7], v[14:15] neg_lo:[0,1] neg_hi:[0,1]
	v_pk_add_f32 v[32:33], v[20:21], v[32:33] neg_lo:[0,1] neg_hi:[0,1]
	v_pk_fma_f32 v[26:27], v[18:19], s[4:5], v[2:3] op_sel_hi:[1,0,1] neg_lo:[1,0,0] neg_hi:[1,0,0]
	v_pk_mul_f32 v[18:19], v[18:19], s[6:7] op_sel_hi:[1,0]
	v_pk_fma_f32 v[6:7], v[6:7], 2.0, v[14:15] op_sel_hi:[1,0,1] neg_lo:[0,0,1] neg_hi:[0,0,1]
	v_pk_fma_f32 v[20:21], v[20:21], 2.0, v[32:33] op_sel_hi:[1,0,1] neg_lo:[0,0,1] neg_hi:[0,0,1]
	v_pk_add_f32 v[42:43], v[26:27], v[18:19] op_sel:[0,1] op_sel_hi:[1,0] neg_lo:[0,1] neg_hi:[0,1]
	v_pk_add_f32 v[18:19], v[26:27], v[18:19] op_sel:[0,1] op_sel_hi:[1,0]
	v_pk_add_f32 v[20:21], v[6:7], v[20:21] neg_lo:[0,1] neg_hi:[0,1]
	v_mov_b32_e32 v43, v19
	v_pk_fma_f32 v[6:7], v[6:7], 2.0, v[20:21] op_sel_hi:[1,0,1] neg_lo:[0,0,1] neg_hi:[0,0,1]
	v_pk_fma_f32 v[2:3], v[2:3], 2.0, v[42:43] op_sel_hi:[1,0,1] neg_lo:[0,0,1] neg_hi:[0,0,1]
	v_fmamk_f32 v0, v40, 0x3ec3ef15, v38
	v_fmamk_f32 v19, v5, 0x3ec3ef15, v1
	;; [unrolled: 1-line block ×3, first 2 shown]
	ds_write2_b64 v46, v[6:7], v[2:3] offset1:125
	v_pk_add_f32 v[2:3], v[10:11], v[16:17] op_sel:[0,1] op_sel_hi:[1,0] neg_lo:[0,1] neg_hi:[0,1]
	v_pk_add_f32 v[4:5], v[10:11], v[16:17] op_sel:[0,1] op_sel_hi:[1,0]
	v_pk_add_f32 v[6:7], v[24:25], v[34:35] op_sel:[0,1] op_sel_hi:[1,0] neg_lo:[0,1] neg_hi:[0,1]
	v_mov_b32_e32 v3, v5
	v_pk_fma_f32 v[4:5], v[10:11], 2.0, v[2:3] op_sel_hi:[1,0,1] neg_lo:[0,0,1] neg_hi:[0,0,1]
	v_pk_add_f32 v[10:11], v[24:25], v[34:35] op_sel:[0,1] op_sel_hi:[1,0]
	v_pk_mul_f32 v[26:27], v[22:23], s[2:3] op_sel_hi:[1,0]
	v_mov_b32_e32 v7, v11
	v_pk_fma_f32 v[10:11], v[24:25], 2.0, v[6:7] op_sel_hi:[1,0,1] neg_lo:[0,0,1] neg_hi:[0,0,1]
	v_pk_fma_f32 v[22:23], v[22:23], s[2:3], v[12:13] op_sel_hi:[1,0,1]
	v_pk_mul_f32 v[16:17], v[10:11], s[2:3] op_sel_hi:[1,0]
	v_pk_fma_f32 v[10:11], v[10:11], s[2:3], v[4:5] op_sel_hi:[1,0,1] neg_lo:[1,0,0] neg_hi:[1,0,0]
	v_pk_add_f32 v[34:35], v[22:23], v[26:27] op_sel:[0,1] op_sel_hi:[1,0] neg_lo:[0,1] neg_hi:[0,1]
	v_pk_add_f32 v[24:25], v[10:11], v[16:17] op_sel:[0,1] op_sel_hi:[1,0] neg_lo:[0,1] neg_hi:[0,1]
	v_pk_add_f32 v[10:11], v[10:11], v[16:17] op_sel:[0,1] op_sel_hi:[1,0]
	v_pk_add_f32 v[22:23], v[22:23], v[26:27] op_sel:[0,1] op_sel_hi:[1,0]
	v_mov_b32_e32 v25, v11
	v_pk_mul_f32 v[10:11], v[8:9], s[2:3] op_sel_hi:[1,0]
	v_pk_fma_f32 v[8:9], v[8:9], s[2:3], v[36:37] op_sel_hi:[1,0,1]
	v_mov_b32_e32 v35, v23
	v_pk_add_f32 v[16:17], v[8:9], v[10:11] op_sel:[0,1] op_sel_hi:[1,0] neg_lo:[0,1] neg_hi:[0,1]
	v_pk_add_f32 v[8:9], v[8:9], v[10:11] op_sel:[0,1] op_sel_hi:[1,0]
	v_pk_fma_f32 v[12:13], v[12:13], 2.0, v[34:35] op_sel_hi:[1,0,1] neg_lo:[0,0,1] neg_hi:[0,0,1]
	v_mov_b32_e32 v17, v9
	v_pk_fma_f32 v[10:11], v[36:37], 2.0, v[16:17] op_sel_hi:[1,0,1] neg_lo:[0,0,1] neg_hi:[0,0,1]
	v_pk_fma_f32 v[4:5], v[4:5], 2.0, v[24:25] op_sel_hi:[1,0,1] neg_lo:[0,0,1] neg_hi:[0,0,1]
	v_pk_fma_f32 v[26:27], v[12:13], s[6:7], v[10:11] op_sel_hi:[1,0,1] neg_lo:[1,0,0] neg_hi:[1,0,0]
	v_pk_mul_f32 v[12:13], v[12:13], s[4:5] op_sel_hi:[1,0]
	v_fmac_f32_e32 v19, 0x3f6c835e, v40
	v_pk_add_f32 v[36:37], v[26:27], v[12:13] op_sel:[0,1] op_sel_hi:[1,0] neg_lo:[0,1] neg_hi:[0,1]
	v_pk_add_f32 v[12:13], v[26:27], v[12:13] op_sel:[0,1] op_sel_hi:[1,0]
	v_fma_f32 v0, v38, 2.0, -v18
	v_mov_b32_e32 v37, v13
	v_pk_fma_f32 v[10:11], v[10:11], 2.0, v[36:37] op_sel_hi:[1,0,1] neg_lo:[0,0,1] neg_hi:[0,0,1]
	ds_write2_b64 v29, v[4:5], v[10:11] offset0:122 offset1:247
	v_pk_add_f32 v[4:5], v[14:15], v[32:33] op_sel:[0,1] op_sel_hi:[1,0] neg_lo:[0,1] neg_hi:[0,1]
	v_pk_add_f32 v[10:11], v[14:15], v[32:33] op_sel:[0,1] op_sel_hi:[1,0]
	v_fma_f32 v1, v1, 2.0, -v19
	v_mov_b32_e32 v5, v11
	v_pk_fma_f32 v[10:11], v[14:15], 2.0, v[4:5] op_sel_hi:[1,0,1] neg_lo:[0,0,1] neg_hi:[0,0,1]
	ds_write2_b64 v47, v[10:11], v[0:1] offset0:116 offset1:241
	v_pk_mul_f32 v[0:1], v[6:7], s[2:3] op_sel_hi:[1,0]
	v_pk_fma_f32 v[6:7], v[6:7], s[2:3], v[2:3] op_sel_hi:[1,0,1]
	v_fmamk_f32 v8, v34, 0x3f6c835e, v16
	v_fmamk_f32 v13, v23, 0x3f6c835e, v9
	v_pk_add_f32 v[10:11], v[6:7], v[0:1] op_sel:[0,1] op_sel_hi:[1,0] neg_lo:[0,1] neg_hi:[0,1]
	v_pk_add_f32 v[0:1], v[6:7], v[0:1] op_sel:[0,1] op_sel_hi:[1,0]
	v_fmamk_f32 v12, v23, 0xbec3ef15, v8
	v_fmac_f32_e32 v13, 0x3ec3ef15, v34
	v_mov_b32_e32 v11, v1
	v_fma_f32 v8, v16, 2.0, -v12
	v_fma_f32 v9, v9, 2.0, -v13
	v_pk_fma_f32 v[0:1], v[2:3], 2.0, v[10:11] op_sel_hi:[1,0,1] neg_lo:[0,0,1] neg_hi:[0,0,1]
	ds_write2_b64 v79, v[0:1], v[8:9] offset0:110 offset1:235
	ds_write2_b64 v83, v[20:21], v[42:43] offset0:104 offset1:229
	;; [unrolled: 1-line block ×5, first 2 shown]
	s_waitcnt lgkmcnt(0)
	s_barrier
	s_and_saveexec_b64 s[2:3], s[0:1]
	s_cbranch_execz .LBB0_29
; %bb.28:
	v_lshl_add_u32 v8, v28, 3, 0
	ds_read2_b64 v[0:3], v8 offset1:125
	v_mov_b32_e32 v29, 0
	v_add_u32_e32 v4, 0x7d, v28
	v_lshl_add_u64 v[6:7], v[28:29], 3, v[30:31]
	v_mov_b32_e32 v5, v29
	s_waitcnt lgkmcnt(0)
	global_store_dwordx2 v[6:7], v[0:1], off
	v_lshl_add_u64 v[0:1], v[4:5], 3, v[30:31]
	v_add_u32_e32 v4, 0x400, v8
	ds_read2_b64 v[4:7], v4 offset0:122 offset1:247
	global_store_dwordx2 v[0:1], v[2:3], off
	v_add_u32_e32 v0, 0xfa, v28
	v_mov_b32_e32 v1, v29
	v_lshl_add_u64 v[0:1], v[0:1], 3, v[30:31]
	s_waitcnt lgkmcnt(0)
	global_store_dwordx2 v[0:1], v[4:5], off
	v_add_u32_e32 v0, 0x177, v28
	v_mov_b32_e32 v1, v29
	v_lshl_add_u64 v[4:5], v[0:1], 3, v[30:31]
	v_add_u32_e32 v0, 0xc00, v8
	ds_read2_b64 v[0:3], v0 offset0:116 offset1:241
	global_store_dwordx2 v[4:5], v[6:7], off
	v_add_u32_e32 v4, 0x1f4, v28
	v_mov_b32_e32 v5, v29
	v_lshl_add_u64 v[4:5], v[4:5], 3, v[30:31]
	s_waitcnt lgkmcnt(0)
	global_store_dwordx2 v[4:5], v[0:1], off
	v_add_u32_e32 v4, 0x1400, v8
	ds_read2_b64 v[4:7], v4 offset0:110 offset1:235
	v_add_u32_e32 v0, 0x271, v28
	v_mov_b32_e32 v1, v29
	v_lshl_add_u64 v[0:1], v[0:1], 3, v[30:31]
	global_store_dwordx2 v[0:1], v[2:3], off
	v_add_u32_e32 v0, 0x2ee, v28
	v_mov_b32_e32 v1, v29
	v_lshl_add_u64 v[0:1], v[0:1], 3, v[30:31]
	s_waitcnt lgkmcnt(0)
	global_store_dwordx2 v[0:1], v[4:5], off
	v_add_u32_e32 v0, 0x36b, v28
	v_mov_b32_e32 v1, v29
	v_lshl_add_u64 v[4:5], v[0:1], 3, v[30:31]
	v_add_u32_e32 v0, 0x1c00, v8
	ds_read2_b64 v[0:3], v0 offset0:104 offset1:229
	global_store_dwordx2 v[4:5], v[6:7], off
	v_add_u32_e32 v4, 0x3e8, v28
	v_mov_b32_e32 v5, v29
	v_lshl_add_u64 v[4:5], v[4:5], 3, v[30:31]
	s_waitcnt lgkmcnt(0)
	global_store_dwordx2 v[4:5], v[0:1], off
	v_add_u32_e32 v4, 0x2400, v8
	ds_read2_b64 v[4:7], v4 offset0:98 offset1:223
	v_add_u32_e32 v0, 0x465, v28
	v_mov_b32_e32 v1, v29
	v_lshl_add_u64 v[0:1], v[0:1], 3, v[30:31]
	;; [unrolled: 22-line block ×3, first 2 shown]
	global_store_dwordx2 v[0:1], v[2:3], off
	v_add_u32_e32 v0, 0x6d6, v28
	v_mov_b32_e32 v1, v29
	v_lshl_add_u64 v[0:1], v[0:1], 3, v[30:31]
	v_add_u32_e32 v28, 0x753, v28
	s_waitcnt lgkmcnt(0)
	global_store_dwordx2 v[0:1], v[4:5], off
	v_lshl_add_u64 v[0:1], v[28:29], 3, v[30:31]
	global_store_dwordx2 v[0:1], v[6:7], off
.LBB0_29:
	s_endpgm
	.section	.rodata,"a",@progbits
	.p2align	6, 0x0
	.amdhsa_kernel fft_rtc_fwd_len2000_factors_5_5_5_16_wgs_125_tpt_125_halfLds_sp_ip_CI_unitstride_sbrr_C2R_dirReg
		.amdhsa_group_segment_fixed_size 0
		.amdhsa_private_segment_fixed_size 0
		.amdhsa_kernarg_size 88
		.amdhsa_user_sgpr_count 2
		.amdhsa_user_sgpr_dispatch_ptr 0
		.amdhsa_user_sgpr_queue_ptr 0
		.amdhsa_user_sgpr_kernarg_segment_ptr 1
		.amdhsa_user_sgpr_dispatch_id 0
		.amdhsa_user_sgpr_kernarg_preload_length 0
		.amdhsa_user_sgpr_kernarg_preload_offset 0
		.amdhsa_user_sgpr_private_segment_size 0
		.amdhsa_uses_dynamic_stack 0
		.amdhsa_enable_private_segment 0
		.amdhsa_system_sgpr_workgroup_id_x 1
		.amdhsa_system_sgpr_workgroup_id_y 0
		.amdhsa_system_sgpr_workgroup_id_z 0
		.amdhsa_system_sgpr_workgroup_info 0
		.amdhsa_system_vgpr_workitem_id 0
		.amdhsa_next_free_vgpr 90
		.amdhsa_next_free_sgpr 22
		.amdhsa_accum_offset 92
		.amdhsa_reserve_vcc 1
		.amdhsa_float_round_mode_32 0
		.amdhsa_float_round_mode_16_64 0
		.amdhsa_float_denorm_mode_32 3
		.amdhsa_float_denorm_mode_16_64 3
		.amdhsa_dx10_clamp 1
		.amdhsa_ieee_mode 1
		.amdhsa_fp16_overflow 0
		.amdhsa_tg_split 0
		.amdhsa_exception_fp_ieee_invalid_op 0
		.amdhsa_exception_fp_denorm_src 0
		.amdhsa_exception_fp_ieee_div_zero 0
		.amdhsa_exception_fp_ieee_overflow 0
		.amdhsa_exception_fp_ieee_underflow 0
		.amdhsa_exception_fp_ieee_inexact 0
		.amdhsa_exception_int_div_zero 0
	.end_amdhsa_kernel
	.text
.Lfunc_end0:
	.size	fft_rtc_fwd_len2000_factors_5_5_5_16_wgs_125_tpt_125_halfLds_sp_ip_CI_unitstride_sbrr_C2R_dirReg, .Lfunc_end0-fft_rtc_fwd_len2000_factors_5_5_5_16_wgs_125_tpt_125_halfLds_sp_ip_CI_unitstride_sbrr_C2R_dirReg
                                        ; -- End function
	.section	.AMDGPU.csdata,"",@progbits
; Kernel info:
; codeLenInByte = 11088
; NumSgprs: 28
; NumVgprs: 90
; NumAgprs: 0
; TotalNumVgprs: 90
; ScratchSize: 0
; MemoryBound: 0
; FloatMode: 240
; IeeeMode: 1
; LDSByteSize: 0 bytes/workgroup (compile time only)
; SGPRBlocks: 3
; VGPRBlocks: 11
; NumSGPRsForWavesPerEU: 28
; NumVGPRsForWavesPerEU: 90
; AccumOffset: 92
; Occupancy: 5
; WaveLimiterHint : 1
; COMPUTE_PGM_RSRC2:SCRATCH_EN: 0
; COMPUTE_PGM_RSRC2:USER_SGPR: 2
; COMPUTE_PGM_RSRC2:TRAP_HANDLER: 0
; COMPUTE_PGM_RSRC2:TGID_X_EN: 1
; COMPUTE_PGM_RSRC2:TGID_Y_EN: 0
; COMPUTE_PGM_RSRC2:TGID_Z_EN: 0
; COMPUTE_PGM_RSRC2:TIDIG_COMP_CNT: 0
; COMPUTE_PGM_RSRC3_GFX90A:ACCUM_OFFSET: 22
; COMPUTE_PGM_RSRC3_GFX90A:TG_SPLIT: 0
	.text
	.p2alignl 6, 3212836864
	.fill 256, 4, 3212836864
	.type	__hip_cuid_4c9e3da187983ed,@object ; @__hip_cuid_4c9e3da187983ed
	.section	.bss,"aw",@nobits
	.globl	__hip_cuid_4c9e3da187983ed
__hip_cuid_4c9e3da187983ed:
	.byte	0                               ; 0x0
	.size	__hip_cuid_4c9e3da187983ed, 1

	.ident	"AMD clang version 19.0.0git (https://github.com/RadeonOpenCompute/llvm-project roc-6.4.0 25133 c7fe45cf4b819c5991fe208aaa96edf142730f1d)"
	.section	".note.GNU-stack","",@progbits
	.addrsig
	.addrsig_sym __hip_cuid_4c9e3da187983ed
	.amdgpu_metadata
---
amdhsa.kernels:
  - .agpr_count:     0
    .args:
      - .actual_access:  read_only
        .address_space:  global
        .offset:         0
        .size:           8
        .value_kind:     global_buffer
      - .offset:         8
        .size:           8
        .value_kind:     by_value
      - .actual_access:  read_only
        .address_space:  global
        .offset:         16
        .size:           8
        .value_kind:     global_buffer
      - .actual_access:  read_only
        .address_space:  global
        .offset:         24
        .size:           8
        .value_kind:     global_buffer
      - .offset:         32
        .size:           8
        .value_kind:     by_value
      - .actual_access:  read_only
        .address_space:  global
        .offset:         40
        .size:           8
        .value_kind:     global_buffer
      - .actual_access:  read_only
        .address_space:  global
        .offset:         48
        .size:           8
        .value_kind:     global_buffer
      - .offset:         56
        .size:           4
        .value_kind:     by_value
      - .actual_access:  read_only
        .address_space:  global
        .offset:         64
        .size:           8
        .value_kind:     global_buffer
      - .actual_access:  read_only
        .address_space:  global
        .offset:         72
        .size:           8
        .value_kind:     global_buffer
      - .address_space:  global
        .offset:         80
        .size:           8
        .value_kind:     global_buffer
    .group_segment_fixed_size: 0
    .kernarg_segment_align: 8
    .kernarg_segment_size: 88
    .language:       OpenCL C
    .language_version:
      - 2
      - 0
    .max_flat_workgroup_size: 125
    .name:           fft_rtc_fwd_len2000_factors_5_5_5_16_wgs_125_tpt_125_halfLds_sp_ip_CI_unitstride_sbrr_C2R_dirReg
    .private_segment_fixed_size: 0
    .sgpr_count:     28
    .sgpr_spill_count: 0
    .symbol:         fft_rtc_fwd_len2000_factors_5_5_5_16_wgs_125_tpt_125_halfLds_sp_ip_CI_unitstride_sbrr_C2R_dirReg.kd
    .uniform_work_group_size: 1
    .uses_dynamic_stack: false
    .vgpr_count:     90
    .vgpr_spill_count: 0
    .wavefront_size: 64
amdhsa.target:   amdgcn-amd-amdhsa--gfx950
amdhsa.version:
  - 1
  - 2
...

	.end_amdgpu_metadata
